;; amdgpu-corpus repo=ROCm/rocFFT kind=compiled arch=gfx1201 opt=O3
	.text
	.amdgcn_target "amdgcn-amd-amdhsa--gfx1201"
	.amdhsa_code_object_version 6
	.protected	bluestein_single_fwd_len510_dim1_sp_op_CI_CI ; -- Begin function bluestein_single_fwd_len510_dim1_sp_op_CI_CI
	.globl	bluestein_single_fwd_len510_dim1_sp_op_CI_CI
	.p2align	8
	.type	bluestein_single_fwd_len510_dim1_sp_op_CI_CI,@function
bluestein_single_fwd_len510_dim1_sp_op_CI_CI: ; @bluestein_single_fwd_len510_dim1_sp_op_CI_CI
; %bb.0:
	s_load_b128 s[4:7], s[0:1], 0x28
	v_mul_u32_u24_e32 v1, 0x788, v0
	s_mov_b32 s2, exec_lo
	s_delay_alu instid0(VALU_DEP_1) | instskip(NEXT) | instid1(VALU_DEP_1)
	v_lshrrev_b32_e32 v1, 16, v1
	v_mad_co_u64_u32 v[76:77], null, ttmp9, 7, v[1:2]
	v_mov_b32_e32 v77, 0
                                        ; kill: def $vgpr2 killed $sgpr0 killed $exec
	s_wait_kmcnt 0x0
	s_delay_alu instid0(VALU_DEP_1)
	v_cmpx_gt_u64_e64 s[4:5], v[76:77]
	s_cbranch_execz .LBB0_23
; %bb.1:
	v_mul_hi_u32 v2, 0x24924925, v76
	v_mul_lo_u16 v1, v1, 34
	s_clause 0x1
	s_load_b64 s[12:13], s[0:1], 0x0
	s_load_b64 s[14:15], s[0:1], 0x38
	s_delay_alu instid0(VALU_DEP_1) | instskip(NEXT) | instid1(VALU_DEP_3)
	v_sub_nc_u16 v0, v0, v1
	v_sub_nc_u32_e32 v3, v76, v2
	s_delay_alu instid0(VALU_DEP_2) | instskip(SKIP_1) | instid1(VALU_DEP_3)
	v_and_b32_e32 v97, 0xffff, v0
	v_cmp_gt_u16_e32 vcc_lo, 30, v0
	v_lshrrev_b32_e32 v3, 1, v3
	s_delay_alu instid0(VALU_DEP_3) | instskip(SKIP_1) | instid1(VALU_DEP_3)
	v_lshlrev_b32_e32 v96, 3, v97
	v_or_b32_e32 v95, 0x1e0, v97
	v_add_nc_u32_e32 v2, v3, v2
	s_delay_alu instid0(VALU_DEP_1) | instskip(NEXT) | instid1(VALU_DEP_1)
	v_lshrrev_b32_e32 v2, 2, v2
	v_mul_lo_u32 v2, v2, 7
	s_delay_alu instid0(VALU_DEP_1) | instskip(NEXT) | instid1(VALU_DEP_1)
	v_sub_nc_u32_e32 v1, v76, v2
	v_mul_u32_u24_e32 v52, 0x1fe, v1
	s_delay_alu instid0(VALU_DEP_1)
	v_lshlrev_b32_e32 v98, 3, v52
	s_and_saveexec_b32 s3, vcc_lo
	s_cbranch_execz .LBB0_3
; %bb.2:
	s_load_b64 s[4:5], s[0:1], 0x18
	s_delay_alu instid0(VALU_DEP_1)
	v_lshl_add_u32 v72, v97, 3, v98
	s_wait_kmcnt 0x0
	s_load_b128 s[8:11], s[4:5], 0x0
	s_clause 0x7
	global_load_b64 v[4:5], v96, s[12:13]
	global_load_b64 v[6:7], v96, s[12:13] offset:240
	global_load_b64 v[8:9], v96, s[12:13] offset:480
	;; [unrolled: 1-line block ×7, first 2 shown]
	s_wait_kmcnt 0x0
	v_mad_co_u64_u32 v[0:1], null, s10, v76, 0
	v_mad_co_u64_u32 v[2:3], null, s8, v97, 0
	s_mul_u64 s[4:5], s[8:9], 0xf0
	s_delay_alu instid0(VALU_DEP_1) | instskip(SKIP_1) | instid1(VALU_DEP_1)
	v_mad_co_u64_u32 v[20:21], null, s11, v76, v[1:2]
	v_mad_co_u64_u32 v[21:22], null, s8, v95, 0
	v_dual_mov_b32 v1, v20 :: v_dual_mov_b32 v20, v22
	s_delay_alu instid0(VALU_DEP_1)
	v_lshlrev_b64_e32 v[0:1], 3, v[0:1]
	s_wait_loadcnt 0x7
	v_mad_co_u64_u32 v[23:24], null, s9, v97, v[3:4]
	s_clause 0x6
	global_load_b64 v[24:25], v96, s[12:13] offset:1920
	global_load_b64 v[26:27], v96, s[12:13] offset:2160
	;; [unrolled: 1-line block ×7, first 2 shown]
	v_mov_b32_e32 v3, v23
	v_mad_co_u64_u32 v[22:23], null, s9, v95, v[20:21]
	v_add_co_u32 v23, s2, s6, v0
	s_delay_alu instid0(VALU_DEP_3) | instskip(SKIP_1) | instid1(VALU_DEP_2)
	v_lshlrev_b64_e32 v[2:3], 3, v[2:3]
	v_add_co_ci_u32_e64 v38, s2, s7, v1, s2
	v_add_co_u32 v0, s2, v23, v2
	s_wait_alu 0xf1ff
	s_delay_alu instid0(VALU_DEP_2)
	v_add_co_ci_u32_e64 v1, s2, v38, v3, s2
	v_lshlrev_b64_e32 v[2:3], 3, v[21:22]
	s_wait_alu 0xfffe
	v_add_co_u32 v20, s2, v0, s4
	s_wait_alu 0xf1ff
	v_add_co_ci_u32_e64 v21, s2, s5, v1, s2
	global_load_b64 v[0:1], v[0:1], off
	v_add_co_u32 v2, s2, v23, v2
	s_wait_alu 0xf1ff
	v_add_co_ci_u32_e64 v3, s2, v38, v3, s2
	v_add_co_u32 v22, s2, v20, s4
	s_wait_alu 0xf1ff
	v_add_co_ci_u32_e64 v23, s2, s5, v21, s2
	global_load_b64 v[2:3], v[2:3], off
	v_add_co_u32 v38, s2, v22, s4
	s_wait_alu 0xf1ff
	v_add_co_ci_u32_e64 v39, s2, s5, v23, s2
	s_delay_alu instid0(VALU_DEP_2) | instskip(SKIP_1) | instid1(VALU_DEP_2)
	v_add_co_u32 v40, s2, v38, s4
	s_wait_alu 0xf1ff
	v_add_co_ci_u32_e64 v41, s2, s5, v39, s2
	s_clause 0x2
	global_load_b64 v[20:21], v[20:21], off
	global_load_b64 v[22:23], v[22:23], off
	;; [unrolled: 1-line block ×3, first 2 shown]
	v_add_co_u32 v42, s2, v40, s4
	s_wait_alu 0xf1ff
	v_add_co_ci_u32_e64 v43, s2, s5, v41, s2
	global_load_b64 v[40:41], v[40:41], off
	v_add_co_u32 v44, s2, v42, s4
	s_wait_alu 0xf1ff
	v_add_co_ci_u32_e64 v45, s2, s5, v43, s2
	global_load_b64 v[42:43], v[42:43], off
	;; [unrolled: 4-line block ×11, first 2 shown]
	s_clause 0x1
	global_load_b64 v[65:66], v96, s[12:13] offset:3360
	global_load_b64 v[67:68], v96, s[12:13] offset:3600
	global_load_b64 v[63:64], v[63:64], off
	v_add_nc_u32_e32 v71, v98, v96
	s_wait_loadcnt 0x12
	v_mul_f32_e32 v69, v1, v5
	v_mul_f32_e32 v70, v0, v5
	s_delay_alu instid0(VALU_DEP_2) | instskip(NEXT) | instid1(VALU_DEP_2)
	v_fmac_f32_e32 v69, v0, v4
	v_fma_f32 v70, v1, v4, -v70
	s_wait_loadcnt 0x11
	v_mul_f32_e32 v5, v3, v37
	s_wait_loadcnt 0x10
	v_dual_mul_f32 v37, v2, v37 :: v_dual_mul_f32 v0, v21, v7
	v_mul_f32_e32 v1, v20, v7
	v_add_nc_u32_e32 v73, 0x800, v71
	s_wait_loadcnt 0xe
	v_dual_mul_f32 v7, v23, v9 :: v_dual_mul_f32 v4, v38, v11
	v_dual_fmac_f32 v5, v2, v36 :: v_dual_fmac_f32 v0, v20, v6
	v_fma_f32 v1, v21, v6, -v1
	s_wait_loadcnt 0xd
	v_mul_f32_e32 v6, v40, v13
	v_dual_mul_f32 v2, v22, v9 :: v_dual_mul_f32 v9, v39, v11
	v_mul_f32_e32 v11, v41, v13
	s_delay_alu instid0(VALU_DEP_1) | instskip(NEXT) | instid1(VALU_DEP_4)
	v_fmac_f32_e32 v11, v40, v12
	v_fma_f32 v12, v41, v12, -v6
	s_wait_loadcnt 0xc
	v_mul_f32_e32 v6, v43, v15
	s_delay_alu instid0(VALU_DEP_1)
	v_fmac_f32_e32 v6, v42, v14
	v_fmac_f32_e32 v7, v22, v8
	v_fma_f32 v8, v23, v8, -v2
	v_mul_f32_e32 v2, v42, v15
	ds_store_b64 v72, v[69:70]
	ds_store_2addr_b64 v71, v[0:1], v[7:8] offset0:30 offset1:60
	s_wait_loadcnt 0xa
	v_mul_f32_e32 v8, v47, v19
	v_mul_f32_e32 v0, v45, v17
	;; [unrolled: 1-line block ×3, first 2 shown]
	v_fma_f32 v7, v43, v14, -v2
	v_mul_f32_e32 v2, v46, v19
	v_fmac_f32_e32 v8, v46, v18
	v_dual_fmac_f32 v0, v44, v16 :: v_dual_fmac_f32 v9, v38, v10
	v_fma_f32 v10, v39, v10, -v4
	s_wait_loadcnt 0x9
	v_mul_f32_e32 v4, v48, v25
	v_fma_f32 v1, v45, v16, -v1
	ds_store_2addr_b64 v71, v[9:10], v[11:12] offset0:90 offset1:120
	v_mul_f32_e32 v10, v49, v25
	v_fma_f32 v9, v47, v18, -v2
	ds_store_2addr_b64 v71, v[6:7], v[0:1] offset0:150 offset1:180
	s_wait_loadcnt 0x8
	v_mul_f32_e32 v1, v50, v27
	v_fma_f32 v11, v49, v24, -v4
	s_wait_loadcnt 0x7
	v_dual_fmac_f32 v10, v48, v24 :: v_dual_mul_f32 v7, v54, v29
	v_mul_f32_e32 v2, v53, v29
	v_mul_f32_e32 v0, v51, v27
	s_wait_loadcnt 0x4
	v_mul_f32_e32 v13, v60, v35
	ds_store_2addr_b64 v71, v[8:9], v[10:11] offset0:210 offset1:240
	v_mul_f32_e32 v9, v56, v31
	v_fma_f32 v8, v54, v28, -v2
	v_dual_mul_f32 v2, v55, v31 :: v_dual_mul_f32 v11, v58, v33
	s_delay_alu instid0(VALU_DEP_3) | instskip(SKIP_2) | instid1(VALU_DEP_3)
	v_dual_mul_f32 v4, v57, v33 :: v_dual_fmac_f32 v9, v55, v30
	s_wait_loadcnt 0x0
	v_dual_mul_f32 v15, v62, v66 :: v_dual_mul_f32 v6, v63, v68
	v_fma_f32 v10, v56, v30, -v2
	v_dual_fmac_f32 v11, v57, v32 :: v_dual_mul_f32 v2, v59, v35
	v_fma_f32 v12, v58, v32, -v4
	v_dual_mul_f32 v4, v61, v66 :: v_dual_mul_f32 v17, v64, v68
	v_dual_fmac_f32 v0, v50, v26 :: v_dual_fmac_f32 v7, v53, v28
	v_fma_f32 v1, v51, v26, -v1
	v_fmac_f32_e32 v13, v59, v34
	v_fma_f32 v14, v60, v34, -v2
	v_fmac_f32_e32 v15, v61, v65
	;; [unrolled: 2-line block ×3, first 2 shown]
	v_fma_f32 v18, v64, v67, -v6
	v_fma_f32 v6, v3, v36, -v37
	ds_store_2addr_b64 v73, v[0:1], v[7:8] offset0:14 offset1:44
	ds_store_2addr_b64 v73, v[9:10], v[11:12] offset0:74 offset1:104
	;; [unrolled: 1-line block ×4, first 2 shown]
.LBB0_3:
	s_or_b32 exec_lo, exec_lo, s3
	v_mov_b32_e32 v8, 0
	v_mov_b32_e32 v9, 0
	global_wb scope:SCOPE_SE
	s_wait_dscnt 0x0
	s_wait_kmcnt 0x0
	s_barrier_signal -1
	s_barrier_wait -1
	global_inv scope:SCOPE_SE
                                        ; implicit-def: $vgpr26
                                        ; implicit-def: $vgpr22
                                        ; implicit-def: $vgpr18
                                        ; implicit-def: $vgpr14
                                        ; implicit-def: $vgpr0
                                        ; implicit-def: $vgpr30
                                        ; implicit-def: $vgpr34
                                        ; implicit-def: $vgpr38
	s_and_saveexec_b32 s2, vcc_lo
	s_cbranch_execz .LBB0_5
; %bb.4:
	v_lshl_add_u32 v0, v52, 3, v96
	s_delay_alu instid0(VALU_DEP_1)
	v_add_nc_u32_e32 v1, 0x400, v0
	v_add_nc_u32_e32 v2, 0x800, v0
	ds_load_2addr_b64 v[8:11], v0 offset1:30
	ds_load_2addr_b64 v[36:39], v0 offset0:60 offset1:90
	ds_load_2addr_b64 v[32:35], v0 offset0:120 offset1:150
	;; [unrolled: 1-line block ×7, first 2 shown]
	ds_load_b64 v[0:1], v0 offset:3840
.LBB0_5:
	s_wait_alu 0xfffe
	s_or_b32 exec_lo, exec_lo, s2
	s_wait_dscnt 0x0
	v_dual_sub_f32 v50, v11, v1 :: v_dual_sub_f32 v51, v10, v0
	v_dual_add_f32 v53, v0, v10 :: v_dual_add_f32 v54, v1, v11
	v_sub_f32_e32 v124, v32, v18
	s_delay_alu instid0(VALU_DEP_3) | instskip(SKIP_1) | instid1(VALU_DEP_3)
	v_dual_mul_f32 v69, 0xbeb8f4ab, v50 :: v_dual_mul_f32 v72, 0xbeb8f4ab, v51
	v_dual_mul_f32 v88, 0xbf65296c, v50 :: v_dual_mul_f32 v99, 0xbf65296c, v51
	v_dual_sub_f32 v120, v33, v19 :: v_dual_mul_f32 v93, 0xbe3c28d5, v124
	s_delay_alu instid0(VALU_DEP_3) | instskip(SKIP_1) | instid1(VALU_DEP_4)
	v_fma_f32 v3, 0x3f6eb680, v54, -v72
	v_mul_f32_e32 v78, 0xbf2c7751, v50
	v_fma_f32 v7, 0x3ee437d1, v54, -v99
	v_dual_fmamk_f32 v2, v53, 0x3f6eb680, v69 :: v_dual_add_f32 v55, v14, v36
	s_delay_alu instid0(VALU_DEP_3) | instskip(NEXT) | instid1(VALU_DEP_3)
	v_dual_add_f32 v3, v3, v9 :: v_dual_fmamk_f32 v4, v53, 0x3f3d2fb0, v78
	v_dual_add_f32 v7, v7, v9 :: v_dual_sub_f32 v116, v36, v14
	v_sub_f32_e32 v108, v37, v15
	v_add_f32_e32 v56, v15, v37
	v_mul_f32_e32 v80, 0xbf2c7751, v51
	v_mul_f32_e32 v107, 0x3f763a35, v120
	;; [unrolled: 1-line block ×4, first 2 shown]
	v_sub_f32_e32 v122, v38, v12
	v_fma_f32 v5, 0x3f3d2fb0, v54, -v80
	v_dual_add_f32 v58, v13, v39 :: v_dual_mul_f32 v77, 0xbf7ee86f, v124
	v_fma_f32 v41, 0x3f3d2fb0, v56, -v71
	v_add_f32_e32 v2, v2, v8
	s_delay_alu instid0(VALU_DEP_4) | instskip(SKIP_1) | instid1(VALU_DEP_4)
	v_dual_mul_f32 v74, 0xbf65296c, v122 :: v_dual_add_f32 v5, v5, v9
	v_dual_fmamk_f32 v6, v53, 0x3ee437d1, v88 :: v_dual_add_f32 v57, v12, v38
	v_add_f32_e32 v3, v41, v3
	v_fma_f32 v41, 0xbf1a4643, v56, -v106
	v_sub_f32_e32 v128, v34, v16
	v_dual_add_f32 v62, v17, v35 :: v_dual_add_f32 v59, v18, v32
	v_dual_sub_f32 v132, v31, v21 :: v_dual_add_f32 v67, v26, v24
	s_delay_alu instid0(VALU_DEP_4)
	v_add_f32_e32 v7, v41, v7
	v_mul_f32_e32 v83, 0xbf7ee86f, v116
	v_fma_f32 v41, 0x3ee437d1, v58, -v74
	v_mul_f32_e32 v70, 0xbf2c7751, v108
	v_mul_f32_e32 v102, 0x3f06c442, v128
	v_dual_add_f32 v64, v23, v29 :: v_dual_mul_f32 v89, 0xbf06c442, v132
	v_fma_f32 v43, 0x3dbcf732, v56, -v83
	v_dual_add_f32 v4, v4, v8 :: v_dual_add_f32 v3, v41, v3
	v_fmamk_f32 v40, v55, 0x3f3d2fb0, v70
	v_dual_add_f32 v66, v21, v31 :: v_dual_mul_f32 v119, 0xbf7ee86f, v132
	s_delay_alu instid0(VALU_DEP_4) | instskip(SKIP_3) | instid1(VALU_DEP_4)
	v_dual_add_f32 v5, v43, v5 :: v_dual_mul_f32 v82, 0xbf7ee86f, v108
	v_fmamk_f32 v43, v59, 0xbe8c1d8e, v107
	v_dual_mul_f32 v94, 0xbf4c4adb, v108 :: v_dual_mul_f32 v87, 0xbf4c4adb, v122
	v_dual_sub_f32 v114, v39, v13 :: v_dual_mul_f32 v109, 0x3e3c28d5, v122
	v_fmamk_f32 v42, v55, 0x3dbcf732, v82
	v_dual_add_f32 v6, v6, v8 :: v_dual_add_f32 v61, v16, v34
	s_delay_alu instid0(VALU_DEP_3)
	v_mul_f32_e32 v73, 0xbf65296c, v114
	v_mul_f32_e32 v103, 0x3e3c28d5, v114
	v_add_f32_e32 v2, v40, v2
	v_add_f32_e32 v4, v42, v4
	v_fmamk_f32 v40, v55, 0xbf1a4643, v94
	v_mul_f32_e32 v86, 0xbf4c4adb, v114
	v_fmamk_f32 v41, v57, 0xbf7ba420, v103
	v_mul_f32_e32 v75, 0xbf7ee86f, v120
	v_fma_f32 v42, 0xbf1a4643, v58, -v87
	v_add_f32_e32 v6, v40, v6
	v_dual_fmamk_f32 v40, v57, 0x3ee437d1, v73 :: v_dual_sub_f32 v125, v35, v17
	v_mul_f32_e32 v91, 0xbe3c28d5, v120
	s_delay_alu instid0(VALU_DEP_3) | instskip(NEXT) | instid1(VALU_DEP_3)
	v_dual_mul_f32 v117, 0x3f763a35, v124 :: v_dual_add_f32 v6, v41, v6
	v_dual_add_f32 v2, v40, v2 :: v_dual_add_f32 v5, v42, v5
	s_delay_alu instid0(VALU_DEP_3) | instskip(NEXT) | instid1(VALU_DEP_3)
	v_dual_fmamk_f32 v42, v59, 0xbf7ba420, v91 :: v_dual_sub_f32 v129, v29, v23
	v_dual_add_f32 v6, v43, v6 :: v_dual_add_f32 v63, v22, v28
	v_fma_f32 v43, 0xbf59a7d5, v62, -v102
	v_fmamk_f32 v40, v57, 0xbf1a4643, v86
	v_mul_f32_e32 v79, 0xbf763a35, v125
	v_dual_sub_f32 v133, v28, v22 :: v_dual_mul_f32 v110, 0x3f2c7751, v125
	v_sub_f32_e32 v135, v30, v20
	s_delay_alu instid0(VALU_DEP_4) | instskip(SKIP_1) | instid1(VALU_DEP_4)
	v_add_f32_e32 v4, v40, v4
	v_fma_f32 v40, 0xbf7ba420, v58, -v109
	v_mul_f32_e32 v85, 0xbf4c4adb, v133
	v_dual_add_f32 v60, v19, v33 :: v_dual_mul_f32 v81, 0xbf763a35, v128
	s_delay_alu instid0(VALU_DEP_3) | instskip(SKIP_1) | instid1(VALU_DEP_3)
	v_dual_add_f32 v4, v42, v4 :: v_dual_add_f32 v7, v40, v7
	v_mul_f32_e32 v105, 0x3f763a35, v133
	v_fma_f32 v41, 0x3dbcf732, v60, -v77
	v_mul_f32_e32 v104, 0x3f763a35, v129
	v_mul_f32_e32 v121, 0x3f2c7751, v128
	;; [unrolled: 1-line block ×3, first 2 shown]
	v_fma_f32 v44, 0xbe8c1d8e, v64, -v105
	v_add_f32_e32 v3, v41, v3
	v_fma_f32 v41, 0xbe8c1d8e, v62, -v81
	v_fmamk_f32 v40, v59, 0x3dbcf732, v75
	v_add_f32_e32 v68, v27, v25
	s_clause 0x1
	s_load_b64 s[4:5], s[0:1], 0x20
	s_load_b64 s[2:3], s[0:1], 0x8
	v_mul_f32_e32 v130, 0xbf7ee86f, v135
	v_dual_add_f32 v3, v41, v3 :: v_dual_add_f32 v2, v40, v2
	v_fma_f32 v40, 0xbf7ba420, v60, -v93
	v_add_f32_e32 v65, v20, v30
	v_fmamk_f32 v41, v63, 0xbf1a4643, v84
	global_wb scope:SCOPE_SE
	s_wait_kmcnt 0x0
	s_barrier_signal -1
	v_add_f32_e32 v5, v40, v5
	v_fma_f32 v40, 0xbe8c1d8e, v60, -v117
	v_mul_f32_e32 v127, 0xbeb8f4ab, v133
	v_mul_f32_e32 v115, 0x3f65296c, v135
	s_barrier_wait -1
	v_add_f32_e32 v5, v43, v5
	v_dual_add_f32 v7, v40, v7 :: v_dual_fmamk_f32 v40, v61, 0xbe8c1d8e, v79
	v_fmamk_f32 v43, v63, 0xbe8c1d8e, v104
	global_inv scope:SCOPE_SE
	v_add_f32_e32 v5, v44, v5
	v_dual_mul_f32 v111, 0xbeb8f4ab, v129 :: v_dual_add_f32 v2, v40, v2
	v_fmamk_f32 v40, v61, 0x3f3d2fb0, v110
	v_dual_sub_f32 v142, v24, v26 :: v_dual_sub_f32 v137, v25, v27
	s_delay_alu instid0(VALU_DEP_3) | instskip(NEXT) | instid1(VALU_DEP_3)
	v_add_f32_e32 v2, v41, v2
	v_add_f32_e32 v6, v40, v6
	v_fma_f32 v40, 0x3f3d2fb0, v62, -v121
	v_mul_f32_e32 v100, 0x3f06c442, v125
	v_fma_f32 v41, 0x3f6eb680, v64, -v127
	v_dual_mul_f32 v92, 0xbe3c28d5, v137 :: v_dual_mul_f32 v101, 0xbe3c28d5, v142
	s_delay_alu instid0(VALU_DEP_3) | instskip(SKIP_2) | instid1(VALU_DEP_3)
	v_dual_add_f32 v7, v40, v7 :: v_dual_fmamk_f32 v42, v61, 0xbf59a7d5, v100
	v_mul_f32_e32 v113, 0x3eb8f4ab, v137
	v_mul_f32_e32 v134, 0xbf06c442, v142
	v_dual_mul_f32 v118, 0x3eb8f4ab, v142 :: v_dual_add_f32 v7, v41, v7
	s_delay_alu instid0(VALU_DEP_4) | instskip(SKIP_1) | instid1(VALU_DEP_4)
	v_dual_add_f32 v4, v42, v4 :: v_dual_fmamk_f32 v41, v65, 0x3dbcf732, v119
	v_fmamk_f32 v40, v63, 0x3f6eb680, v111
	v_fma_f32 v44, 0xbf59a7d5, v68, -v134
	v_fma_f32 v42, 0xbf1a4643, v64, -v85
	s_delay_alu instid0(VALU_DEP_4) | instskip(NEXT) | instid1(VALU_DEP_2)
	v_dual_add_f32 v4, v43, v4 :: v_dual_mul_f32 v123, 0xbf06c442, v137
	v_dual_add_f32 v6, v40, v6 :: v_dual_add_f32 v3, v42, v3
	s_delay_alu instid0(VALU_DEP_1) | instskip(SKIP_2) | instid1(VALU_DEP_1)
	v_add_f32_e32 v41, v41, v6
	v_fma_f32 v6, 0xbf7ba420, v68, -v101
	v_mul_f32_e32 v112, 0x3f65296c, v132
	v_fmamk_f32 v40, v65, 0x3ee437d1, v112
	s_delay_alu instid0(VALU_DEP_1) | instskip(SKIP_1) | instid1(VALU_DEP_1)
	v_add_f32_e32 v4, v40, v4
	v_fma_f32 v40, 0x3ee437d1, v66, -v115
	v_dual_mul_f32 v90, 0xbf06c442, v135 :: v_dual_add_f32 v5, v40, v5
	v_fmamk_f32 v42, v65, 0xbf59a7d5, v89
	s_delay_alu instid0(VALU_DEP_2) | instskip(SKIP_1) | instid1(VALU_DEP_3)
	v_fma_f32 v43, 0xbf59a7d5, v66, -v90
	v_fmamk_f32 v40, v67, 0xbf7ba420, v92
	v_add_f32_e32 v2, v42, v2
	v_fma_f32 v42, 0x3dbcf732, v66, -v130
	s_delay_alu instid0(VALU_DEP_4) | instskip(NEXT) | instid1(VALU_DEP_3)
	v_add_f32_e32 v3, v43, v3
	v_dual_fmamk_f32 v43, v67, 0xbf59a7d5, v123 :: v_dual_add_f32 v2, v40, v2
	s_delay_alu instid0(VALU_DEP_3) | instskip(SKIP_1) | instid1(VALU_DEP_2)
	v_dual_add_f32 v42, v42, v7 :: v_dual_fmamk_f32 v7, v67, 0x3f6eb680, v113
	v_fma_f32 v40, 0x3f6eb680, v68, -v118
	v_dual_add_f32 v3, v6, v3 :: v_dual_add_f32 v6, v7, v4
	s_delay_alu instid0(VALU_DEP_2) | instskip(NEXT) | instid1(VALU_DEP_4)
	v_add_f32_e32 v7, v40, v5
	v_dual_add_f32 v4, v43, v41 :: v_dual_add_f32 v5, v44, v42
	s_and_saveexec_b32 s0, vcc_lo
	s_cbranch_execz .LBB0_7
; %bb.6:
	v_mul_f32_e32 v175, 0xbf763a35, v50
	v_mul_f32_e32 v48, 0xbe8c1d8e, v54
	;; [unrolled: 1-line block ×3, first 2 shown]
	v_dual_mul_f32 v147, 0x3f3d2fb0, v53 :: v_dual_mul_f32 v170, 0x3f3d2fb0, v58
	s_delay_alu instid0(VALU_DEP_4) | instskip(SKIP_1) | instid1(VALU_DEP_4)
	v_fmamk_f32 v43, v53, 0xbe8c1d8e, v175
	v_mul_f32_e32 v172, 0xbf7ba420, v62
	v_fmamk_f32 v44, v55, 0xbf59a7d5, v177
	v_mul_f32_e32 v178, 0x3f2c7751, v114
	s_delay_alu instid0(VALU_DEP_4) | instskip(SKIP_2) | instid1(VALU_DEP_4)
	v_dual_fmamk_f32 v42, v122, 0xbf2c7751, v170 :: v_dual_add_f32 v43, v43, v8
	v_fmamk_f32 v40, v51, 0x3f763a35, v48
	v_mul_f32_e32 v160, 0xbe8c1d8e, v68
	v_fmamk_f32 v45, v57, 0x3f3d2fb0, v178
	v_mul_f32_e32 v163, 0xbf763a35, v137
	v_add_f32_e32 v43, v44, v43
	v_dual_mul_f32 v169, 0xbf59a7d5, v56 :: v_dual_add_f32 v40, v40, v9
	v_mul_f32_e32 v174, 0x3f6eb680, v66
	s_delay_alu instid0(VALU_DEP_3) | instskip(NEXT) | instid1(VALU_DEP_3)
	v_dual_mul_f32 v44, 0xbf59a7d5, v54 :: v_dual_add_f32 v43, v45, v43
	v_fmamk_f32 v41, v116, 0xbf06c442, v169
	v_mul_f32_e32 v45, 0x3ee437d1, v56
	v_mul_f32_e32 v179, 0xbf65296c, v120
	;; [unrolled: 1-line block ×3, first 2 shown]
	s_delay_alu instid0(VALU_DEP_4) | instskip(SKIP_1) | instid1(VALU_DEP_4)
	v_dual_mul_f32 v47, 0x3dbcf732, v58 :: v_dual_add_f32 v40, v41, v40
	v_fmamk_f32 v164, v67, 0xbe8c1d8e, v163
	v_fmamk_f32 v46, v59, 0x3ee437d1, v179
	v_mul_f32_e32 v176, 0xbf1a4643, v68
	v_fmamk_f32 v143, v142, 0x3f763a35, v160
	v_add_f32_e32 v40, v42, v40
	v_fmamk_f32 v42, v128, 0x3e3c28d5, v172
	v_fmamk_f32 v41, v124, 0x3f65296c, v171
	v_add_f32_e32 v43, v46, v43
	v_mul_f32_e32 v173, 0x3dbcf732, v64
	v_mul_f32_e32 v180, 0xbe3c28d5, v125
	v_fmamk_f32 v46, v116, 0xbf65296c, v45
	v_add_f32_e32 v40, v41, v40
	v_mul_f32_e32 v49, 0xbf1a4643, v60
	v_dual_mul_f32 v182, 0xbeb8f4ab, v132 :: v_dual_mul_f32 v159, 0xbeb8f4ab, v125
	s_delay_alu instid0(VALU_DEP_3)
	v_dual_mul_f32 v183, 0xbf4c4adb, v137 :: v_dual_add_f32 v40, v42, v40
	v_fmamk_f32 v42, v135, 0x3eb8f4ab, v174
	v_fmamk_f32 v41, v133, 0xbf7ee86f, v173
	v_mul_f32_e32 v181, 0x3f7ee86f, v129
	v_fmamk_f32 v138, v124, 0xbf4c4adb, v49
	v_fmamk_f32 v136, v142, 0x3f4c4adb, v176
	v_mul_f32_e32 v154, 0x3f65296c, v108
	v_dual_add_f32 v40, v41, v40 :: v_dual_fmamk_f32 v41, v51, 0x3f06c442, v44
	v_mul_f32_e32 v146, 0x3eb8f4ab, v116
	v_mul_f32_e32 v150, 0xbf06c442, v114
	v_mul_f32_e32 v162, 0x3f2c7751, v132
	s_delay_alu instid0(VALU_DEP_4)
	v_dual_add_f32 v40, v42, v40 :: v_dual_add_f32 v41, v41, v9
	v_fmamk_f32 v42, v61, 0xbf7ba420, v180
	v_fmamk_f32 v140, v56, 0x3f6eb680, v146
	;; [unrolled: 1-line block ×3, first 2 shown]
	v_fma_f32 v166, 0xbf59a7d5, v57, -v150
	v_add_f32_e32 v41, v46, v41
	v_fmamk_f32 v46, v122, 0x3f7ee86f, v47
	v_add_f32_e32 v42, v42, v43
	v_dual_mul_f32 v156, 0x3f3d2fb0, v66 :: v_dual_fmamk_f32 v145, v65, 0x3f3d2fb0, v162
	v_mul_f32_e32 v152, 0x3f6eb680, v62
	s_delay_alu instid0(VALU_DEP_4)
	v_dual_add_f32 v46, v46, v41 :: v_dual_fmamk_f32 v43, v63, 0x3dbcf732, v181
	v_add_f32_e32 v41, v136, v40
	v_mul_f32_e32 v157, 0xbf7ee86f, v114
	v_mul_f32_e32 v158, 0x3f4c4adb, v120
	;; [unrolled: 1-line block ×3, first 2 shown]
	v_dual_add_f32 v42, v43, v42 :: v_dual_fmamk_f32 v43, v65, 0x3f6eb680, v182
	v_mul_f32_e32 v185, 0xbeb8f4ab, v122
	v_fmac_f32_e32 v48, 0xbf763a35, v51
	v_fma_f32 v175, 0xbe8c1d8e, v53, -v175
	v_fmac_f32_e32 v170, 0x3f2c7751, v122
	v_add_f32_e32 v40, v43, v42
	v_add_f32_e32 v42, v138, v46
	v_fmamk_f32 v138, v55, 0x3ee437d1, v154
	v_mul_f32_e32 v153, 0xbf06c442, v50
	s_delay_alu instid0(VALU_DEP_4) | instskip(SKIP_2) | instid1(VALU_DEP_4)
	v_dual_fmamk_f32 v43, v128, 0x3eb8f4ab, v152 :: v_dual_add_f32 v40, v139, v40
	v_mul_f32_e32 v46, 0xbf7ba420, v64
	v_mul_f32_e32 v139, 0xbf06c442, v122
	v_fmamk_f32 v136, v53, 0xbf59a7d5, v153
	s_delay_alu instid0(VALU_DEP_4) | instskip(NEXT) | instid1(VALU_DEP_4)
	v_dual_add_f32 v42, v43, v42 :: v_dual_mul_f32 v161, 0xbe3c28d5, v129
	v_fmamk_f32 v43, v133, 0x3e3c28d5, v46
	s_delay_alu instid0(VALU_DEP_3) | instskip(SKIP_2) | instid1(VALU_DEP_4)
	v_dual_fmamk_f32 v141, v58, 0xbf59a7d5, v139 :: v_dual_add_f32 v136, v136, v8
	v_fmac_f32_e32 v45, 0x3f65296c, v116
	v_fmac_f32_e32 v152, 0xbeb8f4ab, v128
	v_add_f32_e32 v42, v43, v42
	s_delay_alu instid0(VALU_DEP_4) | instskip(SKIP_3) | instid1(VALU_DEP_4)
	v_dual_fmamk_f32 v43, v135, 0xbf2c7751, v156 :: v_dual_add_f32 v136, v138, v136
	v_fma_f32 v153, 0xbf59a7d5, v53, -v153
	v_mul_f32_e32 v144, 0xbe3c28d5, v51
	v_fma_f32 v177, 0xbf59a7d5, v55, -v177
	v_dual_add_f32 v42, v43, v42 :: v_dual_fmac_f32 v171, 0xbf65296c, v124
	s_delay_alu instid0(VALU_DEP_4)
	v_add_f32_e32 v153, v153, v8
	v_fmamk_f32 v138, v57, 0x3dbcf732, v157
	v_fmac_f32_e32 v172, 0xbe3c28d5, v128
	v_fmac_f32_e32 v173, 0x3f7ee86f, v133
	;; [unrolled: 1-line block ×3, first 2 shown]
	v_dual_mul_f32 v126, 0x3f6eb680, v53 :: v_dual_mul_f32 v131, 0x3f6eb680, v54
	v_dual_add_f32 v43, v138, v136 :: v_dual_fmamk_f32 v136, v59, 0xbf1a4643, v158
	v_fmamk_f32 v138, v54, 0xbf7ba420, v144
	v_dual_add_f32 v10, v10, v8 :: v_dual_fmac_f32 v47, 0xbf7ee86f, v122
	v_fmac_f32_e32 v156, 0x3f2c7751, v135
	s_delay_alu instid0(VALU_DEP_4) | instskip(NEXT) | instid1(VALU_DEP_4)
	v_dual_add_f32 v43, v136, v43 :: v_dual_fmamk_f32 v136, v61, 0x3f6eb680, v159
	v_add_f32_e32 v138, v138, v9
	v_fmac_f32_e32 v44, 0xbf06c442, v51
	v_dual_fmac_f32 v49, 0x3f4c4adb, v124 :: v_dual_add_f32 v10, v36, v10
	s_delay_alu instid0(VALU_DEP_4) | instskip(NEXT) | instid1(VALU_DEP_4)
	v_dual_add_f32 v43, v136, v43 :: v_dual_fmamk_f32 v136, v63, 0xbf7ba420, v161
	v_add_f32_e32 v138, v140, v138
	v_mul_f32_e32 v140, 0x3f2c7751, v124
	v_add_f32_e32 v44, v44, v9
	v_add_f32_e32 v10, v38, v10
	;; [unrolled: 1-line block ×3, first 2 shown]
	s_delay_alu instid0(VALU_DEP_4) | instskip(NEXT) | instid1(VALU_DEP_4)
	v_dual_add_f32 v138, v141, v138 :: v_dual_fmamk_f32 v149, v60, 0x3f3d2fb0, v140
	v_dual_add_f32 v43, v143, v42 :: v_dual_add_f32 v44, v45, v44
	s_delay_alu instid0(VALU_DEP_3) | instskip(SKIP_1) | instid1(VALU_DEP_4)
	v_add_f32_e32 v42, v145, v136
	v_fma_f32 v145, 0xbf7ba420, v53, -v148
	v_dual_add_f32 v136, v149, v138 :: v_dual_mul_f32 v149, 0x3eb8f4ab, v108
	s_delay_alu instid0(VALU_DEP_4) | instskip(NEXT) | instid1(VALU_DEP_3)
	v_dual_add_f32 v44, v47, v44 :: v_dual_mul_f32 v143, 0x3f65296c, v133
	v_add_f32_e32 v145, v145, v8
	v_fma_f32 v154, 0x3ee437d1, v55, -v154
	s_delay_alu instid0(VALU_DEP_4) | instskip(NEXT) | instid1(VALU_DEP_4)
	v_fma_f32 v155, 0x3f6eb680, v55, -v149
	v_add_f32_e32 v44, v49, v44
	v_fma_f32 v157, 0x3dbcf732, v57, -v157
	v_mul_f32_e32 v141, 0xbf4c4adb, v128
	v_add_f32_e32 v153, v154, v153
	v_add_f32_e32 v155, v155, v145
	v_mul_f32_e32 v145, 0x3f2c7751, v120
	v_add_f32_e32 v44, v152, v44
	v_fma_f32 v152, 0xbf7ba420, v63, -v161
	v_add_f32_e32 v47, v157, v153
	v_dual_add_f32 v155, v166, v155 :: v_dual_fmac_f32 v46, 0xbe3c28d5, v133
	v_mul_f32_e32 v161, 0xbe3c28d5, v135
	v_fma_f32 v157, 0x3f6eb680, v61, -v159
	v_mul_f32_e32 v159, 0x3f7ee86f, v125
	s_delay_alu instid0(VALU_DEP_4) | instskip(SKIP_3) | instid1(VALU_DEP_4)
	v_dual_fmamk_f32 v151, v64, 0x3ee437d1, v143 :: v_dual_add_f32 v46, v46, v44
	v_add_f32_e32 v42, v164, v42
	v_dual_mul_f32 v154, 0xbf763a35, v132 :: v_dual_add_f32 v191, v48, v9
	v_fma_f32 v180, 0xbf7ba420, v61, -v180
	v_add_f32_e32 v46, v156, v46
	v_fmamk_f32 v138, v62, 0xbf1a4643, v141
	s_delay_alu instid0(VALU_DEP_4) | instskip(SKIP_2) | instid1(VALU_DEP_4)
	v_fma_f32 v49, 0xbe8c1d8e, v65, -v154
	v_dual_add_f32 v10, v32, v10 :: v_dual_fmac_f32 v149, 0x3f6eb680, v55
	v_fmac_f32_e32 v169, 0x3f06c442, v116
	v_add_f32_e32 v136, v138, v136
	v_mul_f32_e32 v138, 0xbf763a35, v135
	v_mul_f32_e32 v184, 0x3f763a35, v116
	s_delay_alu instid0(VALU_DEP_4) | instskip(NEXT) | instid1(VALU_DEP_4)
	v_dual_add_f32 v10, v34, v10 :: v_dual_add_f32 v169, v169, v191
	v_add_f32_e32 v151, v151, v136
	s_delay_alu instid0(VALU_DEP_4) | instskip(SKIP_3) | instid1(VALU_DEP_4)
	v_fmamk_f32 v165, v66, 0xbe8c1d8e, v138
	v_mul_f32_e32 v136, 0x3f7ee86f, v142
	v_dual_fmac_f32 v160, 0xbf763a35, v142 :: v_dual_add_f32 v175, v175, v8
	v_add_f32_e32 v10, v28, v10
	v_add_f32_e32 v164, v165, v151
	v_fma_f32 v165, 0x3f3d2fb0, v59, -v145
	v_mul_f32_e32 v151, 0xbf4c4adb, v125
	v_mul_f32_e32 v125, 0xbf65296c, v125
	v_add_f32_e32 v169, v170, v169
	v_add_f32_e32 v175, v177, v175
	v_add_f32_e32 v165, v165, v155
	v_fma_f32 v167, 0xbf1a4643, v61, -v151
	v_mul_f32_e32 v155, 0x3f65296c, v129
	v_fma_f32 v153, 0xbf1a4643, v59, -v158
	v_fma_f32 v177, 0x3f3d2fb0, v57, -v178
	;; [unrolled: 1-line block ×3, first 2 shown]
	v_add_f32_e32 v45, v167, v165
	v_fma_f32 v165, 0x3ee437d1, v63, -v155
	v_add_f32_e32 v47, v153, v47
	v_mul_f32_e32 v153, 0x3f7ee86f, v137
	v_fmamk_f32 v166, v68, 0x3dbcf732, v136
	v_mul_f32_e32 v167, 0x3f7ee86f, v128
	v_add_f32_e32 v45, v165, v45
	v_add_f32_e32 v47, v157, v47
	v_fma_f32 v157, 0x3dbcf732, v67, -v153
	v_mul_f32_e32 v165, 0xbf4c4adb, v51
	s_delay_alu instid0(VALU_DEP_4) | instskip(NEXT) | instid1(VALU_DEP_4)
	v_dual_mul_f32 v128, 0xbf65296c, v128 :: v_dual_add_f32 v49, v49, v45
	v_add_f32_e32 v47, v152, v47
	v_fma_f32 v152, 0x3f3d2fb0, v65, -v162
	s_delay_alu instid0(VALU_DEP_4) | instskip(NEXT) | instid1(VALU_DEP_4)
	v_fmamk_f32 v156, v54, 0xbf1a4643, v165
	v_dual_add_f32 v45, v166, v164 :: v_dual_add_f32 v44, v157, v49
	s_delay_alu instid0(VALU_DEP_3) | instskip(SKIP_3) | instid1(VALU_DEP_4)
	v_dual_mul_f32 v164, 0x3f763a35, v108 :: v_dual_add_f32 v49, v152, v47
	v_fma_f32 v152, 0xbe8c1d8e, v67, -v163
	v_mul_f32_e32 v163, 0xbf4c4adb, v50
	v_add_f32_e32 v47, v160, v46
	v_fma_f32 v157, 0xbe8c1d8e, v55, -v164
	v_mul_f32_e32 v162, 0xbeb8f4ab, v114
	v_add_f32_e32 v46, v152, v49
	v_add_f32_e32 v152, v156, v9
	v_fma_f32 v49, 0xbf1a4643, v53, -v163
	v_fmamk_f32 v156, v56, 0xbe8c1d8e, v184
	v_dual_mul_f32 v166, 0xbf06c442, v124 :: v_dual_add_f32 v175, v177, v175
	v_add_f32_e32 v169, v171, v169
	s_delay_alu instid0(VALU_DEP_4) | instskip(NEXT) | instid1(VALU_DEP_4)
	v_add_f32_e32 v49, v49, v8
	v_add_f32_e32 v152, v156, v152
	v_fmamk_f32 v156, v58, 0x3f6eb680, v185
	s_delay_alu instid0(VALU_DEP_4) | instskip(NEXT) | instid1(VALU_DEP_4)
	v_dual_mul_f32 v160, 0xbf06c442, v120 :: v_dual_add_f32 v169, v172, v169
	v_add_f32_e32 v49, v157, v49
	v_fma_f32 v157, 0x3f6eb680, v57, -v162
	s_delay_alu instid0(VALU_DEP_4)
	v_add_f32_e32 v152, v156, v152
	v_fma_f32 v177, 0x3ee437d1, v59, -v179
	v_fmamk_f32 v156, v60, 0xbf59a7d5, v166
	v_mul_f32_e32 v171, 0x3dbcf732, v56
	v_add_f32_e32 v49, v157, v49
	v_fma_f32 v157, 0xbf59a7d5, v59, -v160
	s_delay_alu instid0(VALU_DEP_4) | instskip(SKIP_2) | instid1(VALU_DEP_4)
	v_dual_add_f32 v175, v177, v175 :: v_dual_add_f32 v152, v156, v152
	v_fmamk_f32 v156, v62, 0x3dbcf732, v167
	v_mul_f32_e32 v168, 0xbf2c7751, v133
	v_add_f32_e32 v49, v157, v49
	v_mul_f32_e32 v157, 0xbf2c7751, v129
	s_delay_alu instid0(VALU_DEP_4) | instskip(SKIP_1) | instid1(VALU_DEP_4)
	v_dual_add_f32 v169, v173, v169 :: v_dual_add_f32 v152, v156, v152
	v_mul_f32_e32 v179, 0xbf1a4643, v55
	v_dual_fmamk_f32 v186, v64, 0x3f3d2fb0, v168 :: v_dual_add_f32 v49, v158, v49
	s_delay_alu instid0(VALU_DEP_4) | instskip(NEXT) | instid1(VALU_DEP_4)
	v_fma_f32 v187, 0x3f3d2fb0, v63, -v157
	v_dual_mul_f32 v156, 0xbe3c28d5, v132 :: v_dual_add_f32 v169, v174, v169
	s_delay_alu instid0(VALU_DEP_3) | instskip(NEXT) | instid1(VALU_DEP_3)
	v_dual_add_f32 v186, v186, v152 :: v_dual_mul_f32 v177, 0x3ee437d1, v57
	v_add_f32_e32 v49, v187, v49
	s_delay_alu instid0(VALU_DEP_3)
	v_fma_f32 v187, 0xbf7ba420, v65, -v156
	v_mul_f32_e32 v152, 0x3f65296c, v137
	v_mul_f32_e32 v124, 0x3eb8f4ab, v124
	;; [unrolled: 1-line block ×3, first 2 shown]
	v_sub_f32_e32 v94, v179, v94
	v_add_f32_e32 v187, v187, v49
	v_fma_f32 v189, 0x3ee437d1, v67, -v152
	v_mul_f32_e32 v179, 0xbe8c1d8e, v62
	v_mul_f32_e32 v133, 0xbf06c442, v133
	;; [unrolled: 1-line block ×4, first 2 shown]
	v_dual_add_f32 v48, v189, v187 :: v_dual_mul_f32 v187, 0x3ee437d1, v54
	v_mul_f32_e32 v190, 0x3f3d2fb0, v54
	v_mul_f32_e32 v189, 0xbf7ee86f, v51
	v_add_f32_e32 v51, v180, v175
	v_fma_f32 v175, 0x3dbcf732, v63, -v181
	v_add_f32_e32 v99, v99, v187
	v_dual_mul_f32 v181, 0xbf1a4643, v57 :: v_dual_add_f32 v106, v106, v172
	s_delay_alu instid0(VALU_DEP_3) | instskip(NEXT) | instid1(VALU_DEP_3)
	v_dual_fmamk_f32 v188, v66, 0xbf7ba420, v161 :: v_dual_add_f32 v175, v175, v51
	v_dual_add_f32 v99, v99, v9 :: v_dual_mul_f32 v170, 0x3f3d2fb0, v56
	v_fma_f32 v180, 0x3f6eb680, v65, -v182
	v_mul_f32_e32 v173, 0x3ee437d1, v58
	s_delay_alu instid0(VALU_DEP_3) | instskip(SKIP_1) | instid1(VALU_DEP_4)
	v_dual_mul_f32 v182, 0xbf1a4643, v58 :: v_dual_add_f32 v99, v106, v99
	v_fmac_f32_e32 v176, 0xbf4c4adb, v142
	v_dual_mul_f32 v158, 0x3f65296c, v142 :: v_dual_add_f32 v175, v180, v175
	v_mul_f32_e32 v180, 0xbf7ee86f, v50
	v_mul_f32_e32 v187, 0x3dbcf732, v60
	s_delay_alu instid0(VALU_DEP_4)
	v_add_f32_e32 v51, v176, v169
	v_fma_f32 v176, 0xbf1a4643, v67, -v183
	v_mul_f32_e32 v183, 0xbf7ba420, v58
	v_mul_f32_e32 v129, 0xbf06c442, v129
	v_add_f32_e32 v11, v11, v9
	v_mul_f32_e32 v135, 0x3f4c4adb, v135
	v_add_f32_e32 v50, v176, v175
	v_add_f32_e32 v109, v109, v183
	v_mul_f32_e32 v183, 0xbe8c1d8e, v60
	v_fmamk_f32 v174, v54, 0x3dbcf732, v189
	v_fma_f32 v175, 0x3dbcf732, v53, -v180
	s_delay_alu instid0(VALU_DEP_4) | instskip(NEXT) | instid1(VALU_DEP_4)
	v_dual_mul_f32 v176, 0xbe3c28d5, v108 :: v_dual_add_f32 v99, v109, v99
	v_dual_add_f32 v117, v117, v183 :: v_dual_mul_f32 v116, 0xbe3c28d5, v116
	s_delay_alu instid0(VALU_DEP_4) | instskip(NEXT) | instid1(VALU_DEP_2)
	v_dual_add_f32 v186, v188, v186 :: v_dual_add_f32 v169, v174, v9
	v_dual_fmamk_f32 v188, v68, 0x3ee437d1, v158 :: v_dual_add_f32 v99, v117, v99
	s_delay_alu instid0(VALU_DEP_3) | instskip(SKIP_2) | instid1(VALU_DEP_4)
	v_fmamk_f32 v174, v56, 0xbf7ba420, v116
	v_mul_f32_e32 v122, 0x3f763a35, v122
	v_mul_f32_e32 v117, 0xbe8c1d8e, v59
	v_dual_add_f32 v49, v188, v186 :: v_dual_mul_f32 v186, 0x3ee437d1, v53
	s_delay_alu instid0(VALU_DEP_4) | instskip(NEXT) | instid1(VALU_DEP_4)
	v_add_f32_e32 v169, v174, v169
	v_fmamk_f32 v174, v58, 0xbe8c1d8e, v122
	s_delay_alu instid0(VALU_DEP_4) | instskip(SKIP_1) | instid1(VALU_DEP_3)
	v_dual_mul_f32 v132, 0x3f4c4adb, v132 :: v_dual_sub_f32 v107, v117, v107
	v_mul_f32_e32 v117, 0xbe8c1d8e, v63
	v_dual_mul_f32 v183, 0xbf7ba420, v59 :: v_dual_add_f32 v108, v174, v169
	v_dual_fmamk_f32 v169, v60, 0x3f6eb680, v124 :: v_dual_add_f32 v174, v175, v8
	v_fma_f32 v175, 0xbf7ba420, v55, -v176
	v_fma_f32 v106, 0xbf1a4643, v65, -v132
	s_delay_alu instid0(VALU_DEP_3) | instskip(NEXT) | instid1(VALU_DEP_3)
	v_dual_mul_f32 v137, 0x3f2c7751, v137 :: v_dual_add_f32 v108, v169, v108
	v_dual_fmamk_f32 v169, v62, 0x3ee437d1, v128 :: v_dual_add_f32 v174, v175, v174
	v_sub_f32_e32 v88, v186, v88
	v_mul_f32_e32 v186, 0xbf59a7d5, v66
	v_dual_sub_f32 v78, v147, v78 :: v_dual_add_f32 v11, v37, v11
	s_delay_alu instid0(VALU_DEP_4) | instskip(NEXT) | instid1(VALU_DEP_4)
	v_dual_add_f32 v108, v169, v108 :: v_dual_fmamk_f32 v169, v64, 0xbf59a7d5, v133
	v_dual_add_f32 v88, v88, v8 :: v_dual_mul_f32 v147, 0x3ee437d1, v66
	v_dual_add_f32 v80, v80, v190 :: v_dual_add_f32 v83, v83, v171
	s_delay_alu instid0(VALU_DEP_3) | instskip(SKIP_1) | instid1(VALU_DEP_4)
	v_dual_add_f32 v108, v169, v108 :: v_dual_mul_f32 v169, 0xbf7ba420, v57
	v_mul_f32_e32 v114, 0x3f763a35, v114
	v_add_f32_e32 v88, v94, v88
	v_mul_f32_e32 v94, 0x3dbcf732, v66
	v_dual_add_f32 v78, v78, v8 :: v_dual_add_f32 v11, v39, v11
	v_sub_f32_e32 v103, v169, v103
	v_fma_f32 v175, 0xbe8c1d8e, v57, -v114
	s_delay_alu instid0(VALU_DEP_4) | instskip(SKIP_1) | instid1(VALU_DEP_4)
	v_dual_add_f32 v94, v130, v94 :: v_dual_mul_f32 v169, 0x3f3d2fb0, v61
	v_sub_f32_e32 v82, v178, v82
	v_add_f32_e32 v88, v103, v88
	s_delay_alu instid0(VALU_DEP_4)
	v_add_f32_e32 v174, v175, v174
	v_fma_f32 v175, 0x3f6eb680, v59, -v120
	v_mul_f32_e32 v103, 0xbf59a7d5, v68
	v_mul_f32_e32 v142, 0x3f2c7751, v142
	v_add_f32_e32 v88, v107, v88
	v_dual_mul_f32 v190, 0xbf7ba420, v68 :: v_dual_sub_f32 v37, v126, v69
	v_add_f32_e32 v174, v175, v174
	v_fma_f32 v175, 0x3ee437d1, v61, -v125
	v_add_f32_e32 v103, v134, v103
	v_mul_f32_e32 v188, 0x3f3d2fb0, v55
	v_mul_f32_e32 v134, 0x3f6eb680, v63
	v_dual_mul_f32 v172, 0x3dbcf732, v59 :: v_dual_mul_f32 v171, 0x3dbcf732, v65
	v_add_f32_e32 v174, v175, v174
	v_fma_f32 v175, 0xbf59a7d5, v63, -v129
	v_dual_add_f32 v11, v33, v11 :: v_dual_add_f32 v78, v82, v78
	v_add_f32_e32 v37, v37, v8
	s_delay_alu instid0(VALU_DEP_3) | instskip(SKIP_1) | instid1(VALU_DEP_4)
	v_dual_add_f32 v39, v74, v173 :: v_dual_add_f32 v174, v175, v174
	v_dual_fmamk_f32 v175, v66, 0xbf1a4643, v135 :: v_dual_sub_f32 v82, v181, v86
	v_add_f32_e32 v11, v35, v11
	s_delay_alu instid0(VALU_DEP_3) | instskip(NEXT) | instid1(VALU_DEP_3)
	v_dual_sub_f32 v35, v177, v73 :: v_dual_add_f32 v106, v106, v174
	v_dual_add_f32 v108, v175, v108 :: v_dual_fmamk_f32 v175, v68, 0x3f3d2fb0, v142
	v_fma_f32 v174, 0x3f3d2fb0, v67, -v137
	v_sub_f32_e32 v70, v188, v70
	v_mul_f32_e32 v86, 0xbf59a7d5, v67
	s_delay_alu instid0(VALU_DEP_4) | instskip(NEXT) | instid1(VALU_DEP_4)
	v_dual_add_f32 v78, v82, v78 :: v_dual_add_f32 v109, v175, v108
	v_add_f32_e32 v108, v174, v106
	v_mul_f32_e32 v174, 0x3f3d2fb0, v62
	v_mul_f32_e32 v106, 0xbf7ba420, v60
	v_dual_mul_f32 v130, 0xbf1a4643, v64 :: v_dual_add_f32 v37, v70, v37
	v_add_f32_e32 v11, v29, v11
	s_delay_alu instid0(VALU_DEP_4) | instskip(SKIP_3) | instid1(VALU_DEP_4)
	v_dual_add_f32 v121, v121, v174 :: v_dual_mul_f32 v174, 0x3f6eb680, v64
	v_fmac_f32_e32 v148, 0xbf7ba420, v53
	v_add_f32_e32 v36, v77, v187
	v_sub_f32_e32 v82, v183, v91
	v_add_f32_e32 v99, v121, v99
	v_add_f32_e32 v127, v127, v174
	v_dual_mul_f32 v174, 0xbf59a7d5, v62 :: v_dual_sub_f32 v91, v171, v119
	v_mul_f32_e32 v121, 0xbf59a7d5, v61
	v_mul_f32_e32 v175, 0xbe8c1d8e, v61
	s_delay_alu instid0(VALU_DEP_4)
	v_add_f32_e32 v99, v127, v99
	v_mul_f32_e32 v127, 0xbf1a4643, v63
	v_add_f32_e32 v72, v72, v131
	v_sub_f32_e32 v110, v169, v110
	v_add_f32_e32 v78, v82, v78
	v_add_f32_e32 v94, v94, v99
	v_dual_add_f32 v80, v80, v9 :: v_dual_mul_f32 v99, 0xbe8c1d8e, v64
	v_dual_sub_f32 v82, v121, v100 :: v_dual_add_f32 v11, v31, v11
	v_add_f32_e32 v29, v35, v37
	s_delay_alu instid0(VALU_DEP_3) | instskip(SKIP_4) | instid1(VALU_DEP_4)
	v_add_f32_e32 v80, v83, v80
	v_add_f32_e32 v83, v87, v182
	v_dual_mul_f32 v87, 0x3f6eb680, v67 :: v_dual_mul_f32 v182, 0x3f6eb680, v68
	v_add_f32_e32 v88, v110, v88
	v_sub_f32_e32 v32, v172, v75
	v_dual_add_f32 v80, v83, v80 :: v_dual_add_f32 v83, v93, v106
	v_dual_mul_f32 v169, 0x3ee437d1, v65 :: v_dual_add_f32 v78, v82, v78
	v_add_f32_e32 v11, v25, v11
	s_delay_alu instid0(VALU_DEP_3) | instskip(SKIP_4) | instid1(VALU_DEP_4)
	v_dual_add_f32 v31, v85, v130 :: v_dual_add_f32 v80, v83, v80
	v_add_f32_e32 v83, v102, v174
	v_sub_f32_e32 v93, v134, v111
	v_dual_sub_f32 v86, v86, v123 :: v_dual_add_f32 v29, v32, v29
	v_sub_f32_e32 v32, v175, v79
	v_add_f32_e32 v80, v83, v80
	s_delay_alu instid0(VALU_DEP_4) | instskip(SKIP_2) | instid1(VALU_DEP_3)
	v_add_f32_e32 v88, v93, v88
	v_add_f32_e32 v83, v105, v99
	v_dual_mul_f32 v107, 0xbf59a7d5, v65 :: v_dual_add_f32 v28, v90, v186
	v_dual_fmac_f32 v145, 0x3f3d2fb0, v59 :: v_dual_add_f32 v88, v91, v88
	v_sub_f32_e32 v91, v117, v104
	s_delay_alu instid0(VALU_DEP_4) | instskip(NEXT) | instid1(VALU_DEP_3)
	v_dual_add_f32 v80, v83, v80 :: v_dual_add_f32 v29, v32, v29
	v_dual_add_f32 v11, v27, v11 :: v_dual_add_f32 v82, v86, v88
	s_delay_alu instid0(VALU_DEP_3) | instskip(SKIP_4) | instid1(VALU_DEP_3)
	v_add_f32_e32 v78, v91, v78
	v_sub_f32_e32 v86, v169, v112
	v_dual_add_f32 v10, v30, v10 :: v_dual_sub_f32 v27, v127, v84
	v_dual_mul_f32 v178, 0xbf7ba420, v67 :: v_dual_add_f32 v91, v71, v170
	v_dual_add_f32 v88, v118, v182 :: v_dual_add_f32 v21, v21, v11
	v_add_f32_e32 v10, v24, v10
	s_delay_alu instid0(VALU_DEP_4) | instskip(SKIP_1) | instid1(VALU_DEP_4)
	v_add_f32_e32 v24, v27, v29
	v_dual_sub_f32 v27, v107, v89 :: v_dual_add_f32 v78, v86, v78
	v_add_f32_e32 v21, v23, v21
	v_sub_f32_e32 v86, v87, v113
	v_add_f32_e32 v87, v72, v9
	v_dual_add_f32 v93, v115, v147 :: v_dual_add_f32 v10, v26, v10
	v_fmac_f32_e32 v151, 0xbf1a4643, v61
	v_dual_fmac_f32 v150, 0xbf59a7d5, v57 :: v_dual_fmac_f32 v129, 0xbf59a7d5, v63
	s_delay_alu instid0(VALU_DEP_4) | instskip(SKIP_3) | instid1(VALU_DEP_4)
	v_add_f32_e32 v69, v91, v87
	v_fma_f32 v23, 0xbf7ba420, v54, -v144
	v_dual_add_f32 v17, v17, v21 :: v_dual_add_f32 v20, v20, v10
	v_fmac_f32_e32 v163, 0xbf1a4643, v53
	v_add_f32_e32 v33, v39, v69
	s_delay_alu instid0(VALU_DEP_4) | instskip(SKIP_4) | instid1(VALU_DEP_4)
	v_add_f32_e32 v21, v23, v9
	v_fma_f32 v23, 0x3f6eb680, v56, -v146
	v_add_f32_e32 v17, v19, v17
	v_add_f32_e32 v19, v22, v20
	v_dual_add_f32 v33, v36, v33 :: v_dual_add_f32 v36, v81, v179
	v_dual_add_f32 v20, v23, v21 :: v_dual_fmac_f32 v153, 0x3dbcf732, v67
	v_fma_f32 v21, 0xbf59a7d5, v58, -v139
	v_add_f32_e32 v13, v13, v17
	s_delay_alu instid0(VALU_DEP_4)
	v_add_f32_e32 v33, v36, v33
	v_add_f32_e32 v16, v16, v19
	v_add_f32_e32 v17, v148, v8
	v_add_f32_e32 v19, v21, v20
	v_fma_f32 v20, 0x3f3d2fb0, v60, -v140
	v_add_f32_e32 v25, v31, v33
	v_add_f32_e32 v13, v15, v13
	v_dual_add_f32 v15, v18, v16 :: v_dual_add_f32 v16, v149, v17
	v_fmac_f32_e32 v157, 0x3f3d2fb0, v63
	s_delay_alu instid0(VALU_DEP_4) | instskip(SKIP_3) | instid1(VALU_DEP_4)
	v_dual_add_f32 v25, v28, v25 :: v_dual_add_f32 v28, v101, v190
	v_dual_add_f32 v80, v93, v80 :: v_dual_add_f32 v17, v20, v19
	v_fma_f32 v18, 0xbf1a4643, v62, -v141
	v_fmac_f32_e32 v154, 0xbe8c1d8e, v65
	v_add_f32_e32 v11, v28, v25
	s_delay_alu instid0(VALU_DEP_4) | instskip(SKIP_4) | instid1(VALU_DEP_4)
	v_add_f32_e32 v72, v88, v80
	v_dual_add_f32 v12, v12, v15 :: v_dual_add_f32 v1, v1, v13
	v_add_f32_e32 v13, v150, v16
	v_add_f32_e32 v15, v18, v17
	v_fma_f32 v16, 0x3ee437d1, v64, -v143
	v_add_f32_e32 v12, v14, v12
	v_fma_f32 v14, 0xbf1a4643, v54, -v165
	;; [unrolled: 2-line block ×4, first 2 shown]
	v_add_f32_e32 v14, v14, v9
	v_dual_add_f32 v24, v27, v24 :: v_dual_fmac_f32 v155, 0x3ee437d1, v63
	v_sub_f32_e32 v25, v178, v92
	v_dual_add_f32 v13, v151, v13 :: v_dual_add_f32 v0, v0, v12
	v_dual_fmac_f32 v159, 0x3dbcf732, v61 :: v_dual_add_f32 v12, v16, v15
	v_add_f32_e32 v14, v17, v14
	v_fma_f32 v15, 0x3f6eb680, v58, -v185
	s_delay_alu instid0(VALU_DEP_4) | instskip(SKIP_1) | instid1(VALU_DEP_3)
	v_dual_add_f32 v10, v25, v24 :: v_dual_add_f32 v13, v155, v13
	v_fma_f32 v16, 0x3dbcf732, v68, -v136
	v_dual_fmac_f32 v125, 0x3ee437d1, v61 :: v_dual_add_f32 v14, v15, v14
	v_fma_f32 v15, 0xbf59a7d5, v60, -v166
	s_delay_alu instid0(VALU_DEP_4) | instskip(NEXT) | instid1(VALU_DEP_4)
	v_add_f32_e32 v17, v154, v13
	v_add_f32_e32 v13, v16, v12
	v_dual_add_f32 v18, v163, v8 :: v_dual_fmac_f32 v137, 0x3f3d2fb0, v67
	s_delay_alu instid0(VALU_DEP_4)
	v_add_f32_e32 v14, v15, v14
	v_fma_f32 v15, 0x3dbcf732, v62, -v167
	v_add_f32_e32 v12, v153, v17
	v_fma_f32 v17, 0x3dbcf732, v54, -v189
	v_fmac_f32_e32 v180, 0x3dbcf732, v53
	v_fmac_f32_e32 v176, 0xbf7ba420, v55
	v_add_f32_e32 v14, v15, v14
	v_fma_f32 v15, 0x3f3d2fb0, v64, -v168
	s_delay_alu instid0(VALU_DEP_4) | instskip(SKIP_2) | instid1(VALU_DEP_4)
	v_dual_add_f32 v9, v17, v9 :: v_dual_add_f32 v8, v180, v8
	v_fmac_f32_e32 v114, 0xbe8c1d8e, v57
	v_fma_f32 v19, 0x3f3d2fb0, v68, -v142
	v_add_f32_e32 v14, v15, v14
	v_fma_f32 v15, 0xbf7ba420, v56, -v116
	v_add_f32_e32 v8, v176, v8
	v_fmac_f32_e32 v120, 0x3f6eb680, v59
	v_fma_f32 v17, 0xbf7ba420, v66, -v161
	v_fmac_f32_e32 v156, 0xbf7ba420, v65
	v_add_f32_e32 v9, v15, v9
	v_fma_f32 v15, 0xbe8c1d8e, v58, -v122
	v_add_f32_e32 v8, v114, v8
	v_fmac_f32_e32 v132, 0xbf1a4643, v65
	v_add_f32_e32 v14, v17, v14
	v_fma_f32 v17, 0x3ee437d1, v68, -v158
	v_add_f32_e32 v9, v15, v9
	v_fma_f32 v15, 0x3f6eb680, v60, -v124
	v_fmac_f32_e32 v164, 0xbe8c1d8e, v55
	v_add_f32_e32 v8, v120, v8
	v_dual_fmac_f32 v152, 0x3ee437d1, v67 :: v_dual_add_f32 v83, v103, v94
	s_delay_alu instid0(VALU_DEP_4) | instskip(SKIP_4) | instid1(VALU_DEP_4)
	v_add_f32_e32 v9, v15, v9
	v_fma_f32 v15, 0x3ee437d1, v62, -v128
	v_add_f32_e32 v16, v164, v18
	v_fma_f32 v18, 0xbf1a4643, v66, -v135
	v_dual_add_f32 v8, v125, v8 :: v_dual_add_f32 v71, v86, v78
	v_add_f32_e32 v9, v15, v9
	v_fma_f32 v15, 0xbf59a7d5, v64, -v133
	v_fmac_f32_e32 v160, 0xbf59a7d5, v59
	s_delay_alu instid0(VALU_DEP_2) | instskip(SKIP_1) | instid1(VALU_DEP_2)
	v_dual_add_f32 v8, v129, v8 :: v_dual_add_f32 v9, v15, v9
	v_mul_lo_u16 v15, v97, 17
	v_add_f32_e32 v20, v132, v8
	s_delay_alu instid0(VALU_DEP_3) | instskip(SKIP_1) | instid1(VALU_DEP_4)
	v_add_f32_e32 v18, v18, v9
	v_fmac_f32_e32 v162, 0x3f6eb680, v57
	v_and_b32_e32 v15, 0xffff, v15
	v_add_f32_e32 v9, v17, v14
	v_add_f32_e32 v14, v137, v20
	s_delay_alu instid0(VALU_DEP_3) | instskip(SKIP_1) | instid1(VALU_DEP_1)
	v_add_lshl_u32 v21, v52, v15, 3
	v_dual_add_f32 v15, v19, v18 :: v_dual_add_f32 v16, v162, v16
	v_add_f32_e32 v16, v160, v16
	s_delay_alu instid0(VALU_DEP_1) | instskip(NEXT) | instid1(VALU_DEP_1)
	v_add_f32_e32 v16, v159, v16
	v_add_f32_e32 v16, v157, v16
	s_delay_alu instid0(VALU_DEP_1) | instskip(NEXT) | instid1(VALU_DEP_1)
	v_add_f32_e32 v16, v156, v16
	v_add_f32_e32 v8, v152, v16
	ds_store_2addr_b64 v21, v[0:1], v[10:11] offset1:1
	ds_store_2addr_b64 v21, v[71:72], v[82:83] offset0:2 offset1:3
	ds_store_2addr_b64 v21, v[108:109], v[50:51] offset0:4 offset1:5
	;; [unrolled: 1-line block ×7, first 2 shown]
	ds_store_b64 v21, v[2:3] offset:128
.LBB0_7:
	s_wait_alu 0xfffe
	s_or_b32 exec_lo, exec_lo, s0
	v_add_lshl_u32 v99, v52, v97, 3
	global_wb scope:SCOPE_SE
	s_wait_dscnt 0x0
	s_barrier_signal -1
	s_barrier_wait -1
	global_inv scope:SCOPE_SE
	v_add_nc_u32_e32 v0, 0x800, v99
	v_cmp_gt_u16_e64 s0, 17, v97
	ds_load_2addr_b64 v[12:15], v99 offset1:34
	ds_load_2addr_b64 v[8:11], v99 offset0:204 offset1:255
	ds_load_2addr_b64 v[16:19], v99 offset0:68 offset1:102
	;; [unrolled: 1-line block ×6, first 2 shown]
	s_and_saveexec_b32 s1, s0
	s_cbranch_execz .LBB0_9
; %bb.8:
	v_add_nc_u32_e32 v0, 0x770, v99
	ds_load_2addr_b64 v[4:7], v0 offset1:255
.LBB0_9:
	s_wait_alu 0xfffe
	s_or_b32 exec_lo, exec_lo, s1
	v_add_co_u32 v40, s1, 0x44, v97
	v_add_co_u32 v36, s6, v97, 34
	s_wait_alu 0xf1ff
	v_add_co_ci_u32_e64 v41, null, 0, 0, s1
	s_delay_alu instid0(VALU_DEP_3) | instskip(NEXT) | instid1(VALU_DEP_3)
	v_and_b32_e32 v1, 0xff, v40
	v_and_b32_e32 v0, 0xff, v36
	v_add_co_u32 v38, s1, 0xffffffef, v97
	v_add_nc_u16 v39, v97, 0x88
	s_delay_alu instid0(VALU_DEP_4) | instskip(NEXT) | instid1(VALU_DEP_4)
	v_mul_lo_u16 v42, 0xf1, v1
	v_mul_lo_u16 v0, 0xf1, v0
	s_wait_alu 0xf1ff
	v_add_co_ci_u32_e64 v1, null, 0, -1, s1
	v_add_nc_u16 v55, v97, 0xaa
	v_lshrrev_b16 v48, 12, v42
	v_lshrrev_b16 v47, 12, v0
	s_delay_alu instid0(VALU_DEP_4)
	v_cndmask_b32_e64 v1, v1, 0, s0
	v_cndmask_b32_e64 v0, v38, v97, s0
	v_add_nc_u16 v38, v97, 0x66
	v_mul_lo_u16 v44, v48, 17
	v_mul_lo_u16 v43, v47, 17
	v_and_b32_e32 v56, 0xff, v55
	v_add_co_ci_u32_e64 v37, null, 0, 0, s6
	s_delay_alu instid0(VALU_DEP_4) | instskip(NEXT) | instid1(VALU_DEP_4)
	v_sub_nc_u16 v45, v40, v44
	v_sub_nc_u16 v49, v36, v43
	v_lshlrev_b64_e32 v[43:44], 3, v[0:1]
	v_mul_lo_u16 v56, 0xf1, v56
	s_delay_alu instid0(VALU_DEP_4) | instskip(NEXT) | instid1(VALU_DEP_4)
	v_and_b32_e32 v53, 0xff, v45
	v_and_b32_e32 v51, 0xff, v49
	v_mad_u16 v47, v47, 34, v49
	v_add_co_u32 v45, s1, s2, v43
	s_wait_alu 0xf1ff
	v_add_co_ci_u32_e64 v46, s1, s3, v44, s1
	v_lshlrev_b32_e32 v51, 3, v51
	v_lshlrev_b32_e32 v54, 3, v53
	v_lshrrev_b16 v56, 12, v56
	global_load_b64 v[85:86], v[45:46], off
	v_and_b32_e32 v1, 0xff, v38
	s_clause 0x1
	global_load_b64 v[91:92], v51, s[2:3]
	global_load_b64 v[89:90], v54, s[2:3]
	v_and_b32_e32 v50, 0xff, v39
	v_cmp_lt_u16_e64 s1, 16, v97
	v_mul_lo_u16 v44, 0xf1, v1
	v_add_nc_u16 v1, v97, 0xcc
	s_delay_alu instid0(VALU_DEP_4) | instskip(SKIP_1) | instid1(VALU_DEP_4)
	v_mul_lo_u16 v43, 0xf1, v50
	v_add_nc_u32_e32 v50, 0xee, v97
	v_lshrrev_b16 v57, 12, v44
	s_delay_alu instid0(VALU_DEP_4) | instskip(NEXT) | instid1(VALU_DEP_4)
	v_and_b32_e32 v58, 0xff, v1
	v_lshrrev_b16 v59, 12, v43
	s_delay_alu instid0(VALU_DEP_4) | instskip(NEXT) | instid1(VALU_DEP_4)
	v_and_b32_e32 v60, 0xffff, v50
	v_mul_lo_u16 v61, v57, 17
	s_delay_alu instid0(VALU_DEP_4) | instskip(NEXT) | instid1(VALU_DEP_4)
	v_mul_lo_u16 v58, 0xf1, v58
	v_mul_lo_u16 v62, v59, 17
	s_delay_alu instid0(VALU_DEP_4) | instskip(NEXT) | instid1(VALU_DEP_4)
	v_mul_u32_u24_e32 v60, 0xf0f1, v60
	v_sub_nc_u16 v46, v38, v61
	s_delay_alu instid0(VALU_DEP_4) | instskip(SKIP_1) | instid1(VALU_DEP_4)
	v_lshrrev_b16 v45, 12, v58
	v_mul_lo_u16 v61, v56, 17
	v_lshrrev_b32_e32 v58, 20, v60
	v_sub_nc_u16 v60, v39, v62
	v_and_b32_e32 v46, 0xff, v46
	v_mul_lo_u16 v62, v45, 17
	v_sub_nc_u16 v55, v55, v61
	v_mul_lo_u16 v58, v58, 17
	v_and_b32_e32 v60, 0xff, v60
	v_lshlrev_b32_e32 v61, 3, v46
	v_sub_nc_u16 v1, v1, v62
	v_and_b32_e32 v45, 0xffff, v45
	v_sub_nc_u16 v50, v50, v58
	v_lshlrev_b32_e32 v58, 3, v60
	global_load_b64 v[87:88], v61, s[2:3]
	v_and_b32_e32 v1, 0xff, v1
	v_mul_u32_u24_e32 v45, 34, v45
	global_load_b64 v[81:82], v58, s[2:3]
	v_and_b32_e32 v55, 0xff, v55
	v_and_b32_e32 v101, 0xffff, v50
	v_lshlrev_b32_e32 v51, 3, v1
	s_delay_alu instid0(VALU_DEP_3) | instskip(NEXT) | instid1(VALU_DEP_3)
	v_lshlrev_b32_e32 v50, 3, v55
	v_lshlrev_b32_e32 v54, 3, v101
	s_clause 0x2
	global_load_b64 v[83:84], v50, s[2:3]
	global_load_b64 v[79:80], v51, s[2:3]
	;; [unrolled: 1-line block ×3, first 2 shown]
	s_wait_alu 0xf1ff
	v_cndmask_b32_e64 v50, 0, 34, s1
	s_load_b128 s[4:7], s[4:5], 0x0
	global_wb scope:SCOPE_SE
	s_wait_loadcnt_dscnt 0x0
	s_wait_kmcnt 0x0
	s_barrier_signal -1
	s_barrier_wait -1
	v_add_nc_u32_e32 v0, v0, v50
	v_and_b32_e32 v50, 0xffff, v59
	global_inv scope:SCOPE_SE
	v_add_lshl_u32 v102, v52, v0, 3
	v_and_b32_e32 v0, 0xffff, v48
	v_and_b32_e32 v48, 0xffff, v57
	v_mul_u32_u24_e32 v49, 34, v50
	s_delay_alu instid0(VALU_DEP_2) | instskip(NEXT) | instid1(VALU_DEP_1)
	v_mul_u32_u24_e32 v48, 34, v48
	v_add_nc_u32_e32 v46, v48, v46
	s_delay_alu instid0(VALU_DEP_1) | instskip(SKIP_1) | instid1(VALU_DEP_1)
	v_add_lshl_u32 v106, v52, v46, 3
	v_mul_f32_e32 v46, v30, v90
	v_fmac_f32_e32 v46, v31, v89
	v_dual_mul_f32 v54, v35, v80 :: v_dual_mul_f32 v57, v6, v78
	v_add_nc_u32_e32 v48, v49, v60
	v_add_nc_u32_e32 v45, v45, v1
	v_mul_f32_e32 v1, v11, v86
	s_delay_alu instid0(VALU_DEP_4) | instskip(NEXT) | instid1(VALU_DEP_4)
	v_fmac_f32_e32 v57, v7, v77
	v_add_lshl_u32 v105, v52, v48, 3
	v_mul_f32_e32 v48, v24, v88
	v_and_b32_e32 v51, 0xffff, v56
	v_mul_u32_u24_e32 v0, 34, v0
	v_fma_f32 v1, v10, v85, -v1
	v_mul_f32_e32 v56, v7, v78
	v_fmac_f32_e32 v48, v25, v87
	v_mul_u32_u24_e32 v50, 34, v51
	v_dual_mul_f32 v51, v33, v84 :: v_dual_add_nc_u32 v0, v0, v53
	v_mul_f32_e32 v53, v32, v84
	s_delay_alu instid0(VALU_DEP_3) | instskip(SKIP_1) | instid1(VALU_DEP_4)
	v_add_nc_u32_e32 v49, v50, v55
	v_mul_f32_e32 v50, v10, v86
	v_add_lshl_u32 v107, v52, v0, 3
	v_dual_sub_f32 v0, v12, v1 :: v_dual_mul_f32 v55, v34, v80
	s_delay_alu instid0(VALU_DEP_3) | instskip(NEXT) | instid1(VALU_DEP_2)
	v_dual_fmac_f32 v53, v33, v83 :: v_dual_fmac_f32 v50, v11, v85
	v_fma_f32 v10, v12, 2.0, -v0
	s_delay_alu instid0(VALU_DEP_3) | instskip(NEXT) | instid1(VALU_DEP_3)
	v_dual_mul_f32 v12, v29, v92 :: v_dual_fmac_f32 v55, v35, v79
	v_sub_f32_e32 v1, v13, v50
	v_dual_mul_f32 v50, v26, v82 :: v_dual_and_b32 v47, 0xff, v47
	s_delay_alu instid0(VALU_DEP_2) | instskip(NEXT) | instid1(VALU_DEP_2)
	v_fma_f32 v11, v13, 2.0, -v1
	v_fmac_f32_e32 v50, v27, v81
	s_delay_alu instid0(VALU_DEP_3)
	v_add_lshl_u32 v108, v52, v47, 3
	v_mul_f32_e32 v47, v25, v88
	v_mul_f32_e32 v13, v28, v92
	ds_store_2addr_b64 v102, v[10:11], v[0:1] offset1:17
	v_fma_f32 v0, v28, v91, -v12
	v_fma_f32 v28, v34, v79, -v54
	;; [unrolled: 1-line block ×3, first 2 shown]
	v_fmac_f32_e32 v13, v29, v91
	v_sub_f32_e32 v11, v17, v46
	s_delay_alu instid0(VALU_DEP_4) | instskip(NEXT) | instid1(VALU_DEP_4)
	v_dual_sub_f32 v25, v21, v50 :: v_dual_sub_f32 v28, v8, v28
	v_sub_f32_e32 v12, v18, v12
	v_add_lshl_u32 v103, v52, v45, 3
	v_mul_f32_e32 v45, v31, v90
	v_sub_f32_e32 v7, v15, v13
	v_sub_f32_e32 v13, v19, v48
	;; [unrolled: 1-line block ×3, first 2 shown]
	v_fma_f32 v17, v17, 2.0, -v11
	v_fma_f32 v1, v30, v89, -v45
	v_fma_f32 v30, v6, v77, -v56
	v_sub_f32_e32 v6, v14, v0
	v_fma_f32 v15, v15, 2.0, -v7
	v_fma_f32 v18, v18, 2.0, -v12
	v_sub_f32_e32 v10, v16, v1
	v_sub_f32_e32 v1, v5, v57
	v_add_lshl_u32 v104, v52, v49, 3
	v_mul_f32_e32 v49, v27, v82
	v_dual_sub_f32 v27, v23, v53 :: v_dual_sub_f32 v0, v4, v30
	v_fma_f32 v14, v14, 2.0, -v6
	v_fma_f32 v16, v16, 2.0, -v10
	s_delay_alu instid0(VALU_DEP_4)
	v_fma_f32 v24, v26, v81, -v49
	v_fma_f32 v26, v32, v83, -v51
	v_fma_f32 v19, v19, 2.0, -v13
	v_fma_f32 v21, v21, 2.0, -v25
	;; [unrolled: 1-line block ×3, first 2 shown]
	v_sub_f32_e32 v24, v20, v24
	v_sub_f32_e32 v26, v22, v26
	v_fma_f32 v8, v8, 2.0, -v28
	v_fma_f32 v9, v9, 2.0, -v29
	s_delay_alu instid0(VALU_DEP_4) | instskip(NEXT) | instid1(VALU_DEP_4)
	v_fma_f32 v20, v20, 2.0, -v24
	v_fma_f32 v22, v22, 2.0, -v26
	ds_store_2addr_b64 v108, v[14:15], v[6:7] offset1:17
	ds_store_2addr_b64 v107, v[16:17], v[10:11] offset1:17
	ds_store_2addr_b64 v106, v[18:19], v[12:13] offset1:17
	ds_store_2addr_b64 v105, v[20:21], v[24:25] offset1:17
	ds_store_2addr_b64 v104, v[22:23], v[26:27] offset1:17
	ds_store_2addr_b64 v103, v[8:9], v[28:29] offset1:17
	s_and_saveexec_b32 s1, s0
	s_cbranch_execz .LBB0_11
; %bb.10:
	v_add_lshl_u32 v6, v52, v101, 3
	v_fma_f32 v5, v5, 2.0, -v1
	v_fma_f32 v4, v4, 2.0, -v0
	s_delay_alu instid0(VALU_DEP_3)
	v_add_nc_u32_e32 v6, 0x800, v6
	ds_store_2addr_b64 v6, v[4:5], v[0:1] offset0:220 offset1:237
.LBB0_11:
	s_wait_alu 0xfffe
	s_or_b32 exec_lo, exec_lo, s1
	v_lshrrev_b16 v8, 13, v42
	v_lshrrev_b16 v9, 13, v44
	v_lshlrev_b32_e32 v4, 4, v97
	v_lshrrev_b16 v10, 13, v43
	global_wb scope:SCOPE_SE
	s_wait_dscnt 0x0
	v_mul_lo_u16 v8, v8, 34
	v_mul_lo_u16 v9, v9, 34
	s_barrier_signal -1
	s_barrier_wait -1
	global_inv scope:SCOPE_SE
	v_sub_nc_u16 v8, v40, v8
	global_load_b128 v[4:7], v4, s[2:3] offset:136
	v_mul_lo_u16 v10, v10, 34
	v_sub_nc_u16 v9, v38, v9
	v_lshlrev_b64_e32 v[49:50], 5, v[36:37]
	v_and_b32_e32 v51, 0xff, v8
	v_lshl_add_u32 v100, v97, 3, v98
	v_sub_nc_u16 v8, v39, v10
	v_and_b32_e32 v57, 0xff, v9
	s_delay_alu instid0(VALU_DEP_4) | instskip(SKIP_4) | instid1(VALU_DEP_3)
	v_lshlrev_b32_e32 v9, 4, v51
	global_load_b128 v[16:19], v9, s[2:3] offset:136
	v_and_b32_e32 v58, 0xff, v8
	v_lshlrev_b32_e32 v8, 4, v57
	v_add_nc_u32_e32 v48, 0x800, v99
	v_lshlrev_b32_e32 v9, 4, v58
	s_clause 0x1
	global_load_b128 v[12:15], v8, s[2:3] offset:136
	global_load_b128 v[8:11], v9, s[2:3] offset:136
	ds_load_2addr_b64 v[20:23], v99 offset0:136 offset1:170
	ds_load_2addr_b64 v[24:27], v48 offset0:84 offset1:118
	ds_load_2addr_b64 v[28:31], v99 offset1:34
	ds_load_2addr_b64 v[32:35], v99 offset0:204 offset1:238
	ds_load_2addr_b64 v[42:45], v99 offset0:68 offset1:102
	ds_load_b64 v[46:47], v99 offset:3808
	s_wait_loadcnt_dscnt 0x302
	v_dual_mul_f32 v64, v27, v7 :: v_dual_mul_f32 v63, v32, v5
	ds_load_2addr_b64 v[36:39], v48 offset0:152 offset1:186
	ds_load_2addr_b64 v[53:56], v48 offset0:16 offset1:50
	v_mul_f32_e32 v60, v25, v7
	v_add_lshl_u32 v110, v52, v57, 3
	v_mul_f32_e32 v57, v23, v5
	v_add_lshl_u32 v109, v52, v58, 3
	v_dual_mul_f32 v58, v22, v5 :: v_dual_mul_f32 v61, v24, v7
	v_dual_mul_f32 v62, v33, v5 :: v_dual_mul_f32 v65, v26, v7
	s_delay_alu instid0(VALU_DEP_2) | instskip(SKIP_1) | instid1(VALU_DEP_4)
	v_dual_fmac_f32 v58, v23, v4 :: v_dual_lshlrev_b32 v59, 5, v97
	v_add_lshl_u32 v111, v52, v51, 3
	v_dual_fmac_f32 v61, v25, v6 :: v_dual_add_nc_u32 v52, 0x800, v109
	v_fma_f32 v22, v22, v4, -v57
	v_fma_f32 v23, v24, v6, -v60
	v_fma_f32 v24, v32, v4, -v62
	v_fmac_f32_e32 v63, v33, v4
	v_fma_f32 v26, v26, v6, -v64
	v_fmac_f32_e32 v65, v27, v6
	v_dual_sub_f32 v32, v58, v61 :: v_dual_add_nc_u32 v51, 0x800, v110
	s_delay_alu instid0(VALU_DEP_3)
	v_dual_add_f32 v27, v22, v23 :: v_dual_add_f32 v62, v24, v26
	v_add_f32_e32 v33, v29, v58
	v_add_f32_e32 v57, v58, v61
	v_sub_f32_e32 v58, v22, v23
	v_dual_add_f32 v60, v30, v24 :: v_dual_add_f32 v25, v28, v22
	v_sub_f32_e32 v64, v63, v65
	v_add_f32_e32 v66, v31, v63
	v_add_f32_e32 v63, v63, v65
	s_delay_alu instid0(VALU_DEP_4)
	v_dual_sub_f32 v67, v24, v26 :: v_dual_add_f32 v22, v25, v23
	v_fma_f32 v24, -0.5, v27, v28
	v_add_f32_e32 v23, v33, v61
	v_fma_f32 v25, -0.5, v57, v29
	v_add_f32_e32 v26, v60, v26
	v_fma_f32 v30, -0.5, v62, v30
	s_wait_loadcnt_dscnt 0x201
	v_mul_f32_e32 v62, v36, v19
	s_wait_loadcnt_dscnt 0x0
	v_dual_fmac_f32 v31, -0.5, v63 :: v_dual_mul_f32 v70, v55, v9
	v_dual_mul_f32 v57, v35, v17 :: v_dual_mul_f32 v68, v38, v15
	v_dual_mul_f32 v60, v34, v17 :: v_dual_mul_f32 v61, v37, v19
	v_dual_fmamk_f32 v28, v32, 0x3f5db3d7, v24 :: v_dual_add_f32 v27, v66, v65
	v_dual_mul_f32 v66, v39, v15 :: v_dual_mul_f32 v63, v54, v13
	v_dual_fmac_f32 v24, 0xbf5db3d7, v32 :: v_dual_mul_f32 v65, v53, v13
	v_dual_mul_f32 v72, v46, v11 :: v_dual_mul_f32 v69, v56, v9
	v_dual_mul_f32 v71, v47, v11 :: v_dual_fmamk_f32 v32, v64, 0x3f5db3d7, v30
	v_dual_fmamk_f32 v29, v58, 0xbf5db3d7, v25 :: v_dual_fmac_f32 v60, v35, v16
	v_dual_fmamk_f32 v33, v67, 0xbf5db3d7, v31 :: v_dual_fmac_f32 v62, v37, v18
	v_fma_f32 v34, v34, v16, -v57
	v_fma_f32 v35, v36, v18, -v61
	v_dual_fmac_f32 v25, 0x3f5db3d7, v58 :: v_dual_fmac_f32 v70, v56, v8
	v_fmac_f32_e32 v30, 0xbf5db3d7, v64
	v_dual_fmac_f32 v31, 0x3f5db3d7, v67 :: v_dual_fmac_f32 v68, v39, v14
	v_fma_f32 v36, v53, v12, -v63
	v_dual_fmac_f32 v65, v54, v12 :: v_dual_fmac_f32 v72, v47, v10
	v_fma_f32 v37, v38, v14, -v66
	v_fma_f32 v38, v55, v8, -v69
	;; [unrolled: 1-line block ×3, first 2 shown]
	global_wb scope:SCOPE_SE
	s_barrier_signal -1
	s_barrier_wait -1
	global_inv scope:SCOPE_SE
	ds_store_2addr_b64 v99, v[22:23], v[28:29] offset1:34
	ds_store_2addr_b64 v99, v[24:25], v[26:27] offset0:68 offset1:102
	ds_store_2addr_b64 v99, v[32:33], v[30:31] offset0:136 offset1:170
	v_dual_add_f32 v22, v42, v34 :: v_dual_add_f32 v25, v43, v60
	v_dual_add_f32 v23, v34, v35 :: v_dual_add_f32 v26, v60, v62
	v_dual_add_f32 v27, v44, v36 :: v_dual_add_f32 v46, v38, v39
	v_dual_add_f32 v28, v36, v37 :: v_dual_sub_f32 v33, v65, v68
	v_dual_add_f32 v53, v21, v70 :: v_dual_add_f32 v54, v70, v72
	v_dual_add_f32 v30, v65, v68 :: v_dual_sub_f32 v31, v60, v62
	v_dual_sub_f32 v32, v34, v35 :: v_dual_add_f32 v29, v45, v65
	v_dual_sub_f32 v34, v36, v37 :: v_dual_sub_f32 v47, v70, v72
	v_add_f32_e32 v36, v20, v38
	v_sub_f32_e32 v38, v38, v39
	v_fma_f32 v24, -0.5, v23, v42
	v_add_f32_e32 v23, v25, v62
	v_fma_f32 v25, -0.5, v26, v43
	v_fma_f32 v44, -0.5, v28, v44
	v_dual_fmac_f32 v21, -0.5, v54 :: v_dual_add_f32 v26, v27, v37
	v_fmac_f32_e32 v45, -0.5, v30
	v_fma_f32 v20, -0.5, v46, v20
	v_dual_add_f32 v22, v22, v35 :: v_dual_add_f32 v27, v29, v68
	v_fmamk_f32 v30, v31, 0x3f5db3d7, v24
	v_dual_fmac_f32 v24, 0xbf5db3d7, v31 :: v_dual_fmamk_f32 v31, v32, 0xbf5db3d7, v25
	v_dual_fmac_f32 v25, 0x3f5db3d7, v32 :: v_dual_fmamk_f32 v32, v33, 0x3f5db3d7, v44
	;; [unrolled: 1-line block ×3, first 2 shown]
	v_dual_fmac_f32 v45, 0x3f5db3d7, v34 :: v_dual_add_f32 v28, v36, v39
	v_dual_add_f32 v29, v53, v72 :: v_dual_fmamk_f32 v34, v47, 0x3f5db3d7, v20
	v_dual_fmac_f32 v20, 0xbf5db3d7, v47 :: v_dual_fmamk_f32 v35, v38, 0xbf5db3d7, v21
	v_fmac_f32_e32 v21, 0x3f5db3d7, v38
	ds_store_2addr_b64 v111, v[22:23], v[30:31] offset0:204 offset1:238
	ds_store_b64 v111, v[24:25] offset:2176
	ds_store_2addr_b64 v51, v[26:27], v[32:33] offset0:50 offset1:84
	ds_store_b64 v110, v[44:45] offset:2992
	;; [unrolled: 2-line block ×3, first 2 shown]
	v_lshlrev_b64_e32 v[22:23], 5, v[40:41]
	v_add_co_u32 v20, s1, s2, v49
	s_wait_alu 0xf1ff
	v_add_co_ci_u32_e64 v21, s1, s3, v50, s1
	global_wb scope:SCOPE_SE
	s_wait_dscnt 0x0
	v_add_co_u32 v22, s1, s2, v22
	s_barrier_signal -1
	s_barrier_wait -1
	global_inv scope:SCOPE_SE
	s_clause 0x2
	global_load_b128 v[36:39], v59, s[2:3] offset:680
	global_load_b128 v[40:43], v59, s[2:3] offset:696
	global_load_b128 v[32:35], v[20:21], off offset:680
	s_wait_alu 0xf1ff
	v_add_co_ci_u32_e64 v23, s1, s3, v23, s1
	s_clause 0x2
	global_load_b128 v[24:27], v[20:21], off offset:696
	global_load_b128 v[28:31], v[22:23], off offset:680
	;; [unrolled: 1-line block ×3, first 2 shown]
	ds_load_2addr_b64 v[44:47], v99 offset0:68 offset1:102
	ds_load_2addr_b64 v[56:59], v99 offset0:204 offset1:238
	;; [unrolled: 1-line block ×6, first 2 shown]
	ds_load_2addr_b64 v[52:55], v99 offset1:34
	ds_load_b64 v[49:50], v99 offset:3808
	v_add_nc_u32_e32 v48, 0x800, v100
	s_wait_loadcnt_dscnt 0x507
	v_dual_mul_f32 v94, v46, v37 :: v_dual_add_nc_u32 v51, 0x400, v100
	s_wait_dscnt 0x6
	v_dual_mul_f32 v93, v47, v37 :: v_dual_mul_f32 v112, v57, v39
	s_wait_loadcnt_dscnt 0x405
	v_mul_f32_e32 v115, v62, v41
	v_dual_mul_f32 v113, v56, v39 :: v_dual_mul_f32 v114, v63, v41
	s_wait_loadcnt_dscnt 0x303
	v_dual_mul_f32 v116, v65, v43 :: v_dual_mul_f32 v119, v68, v33
	v_dual_mul_f32 v117, v64, v43 :: v_dual_mul_f32 v118, v69, v33
	s_wait_loadcnt_dscnt 0x202
	v_dual_mul_f32 v120, v59, v35 :: v_dual_mul_f32 v123, v72, v25
	v_dual_mul_f32 v121, v58, v35 :: v_dual_mul_f32 v122, v73, v25
	s_wait_loadcnt 0x1
	v_dual_mul_f32 v124, v67, v27 :: v_dual_mul_f32 v127, v70, v29
	v_dual_mul_f32 v125, v66, v27 :: v_dual_mul_f32 v126, v71, v29
	s_wait_loadcnt 0x0
	v_dual_mul_f32 v128, v61, v31 :: v_dual_mul_f32 v131, v74, v21
	v_dual_mul_f32 v129, v60, v31 :: v_dual_mul_f32 v130, v75, v21
	s_wait_dscnt 0x0
	v_dual_mul_f32 v132, v50, v23 :: v_dual_fmac_f32 v113, v57, v38
	v_dual_mul_f32 v133, v49, v23 :: v_dual_fmac_f32 v94, v47, v36
	v_fma_f32 v46, v46, v36, -v93
	v_fma_f32 v47, v56, v38, -v112
	;; [unrolled: 1-line block ×3, first 2 shown]
	v_fmac_f32_e32 v115, v63, v40
	v_fma_f32 v112, v64, v42, -v116
	v_fmac_f32_e32 v117, v65, v42
	v_fma_f32 v56, v68, v32, -v118
	v_fma_f32 v57, v58, v34, -v120
	v_fmac_f32_e32 v121, v59, v34
	v_fma_f32 v58, v72, v24, -v122
	v_dual_fmac_f32 v123, v73, v24 :: v_dual_sub_f32 v116, v47, v93
	v_fma_f32 v59, v66, v26, -v124
	v_fmac_f32_e32 v125, v67, v26
	v_fma_f32 v62, v70, v28, -v126
	v_sub_f32_e32 v70, v93, v112
	v_fma_f32 v64, v60, v30, -v128
	v_dual_fmac_f32 v129, v61, v30 :: v_dual_sub_f32 v114, v46, v112
	v_fma_f32 v65, v74, v20, -v130
	v_fmac_f32_e32 v131, v75, v20
	v_fma_f32 v49, v49, v22, -v132
	v_dual_add_f32 v60, v47, v93 :: v_dual_fmac_f32 v119, v69, v32
	v_sub_f32_e32 v68, v94, v117
	v_fmac_f32_e32 v133, v50, v22
	v_dual_add_f32 v50, v52, v46 :: v_dual_fmac_f32 v127, v71, v28
	v_add_f32_e32 v72, v113, v115
	v_dual_sub_f32 v69, v113, v115 :: v_dual_add_f32 v74, v94, v117
	v_dual_sub_f32 v61, v46, v47 :: v_dual_add_f32 v120, v57, v58
	;; [unrolled: 1-line block ×3, first 2 shown]
	v_dual_add_f32 v66, v46, v112 :: v_dual_sub_f32 v67, v47, v46
	v_sub_f32_e32 v124, v121, v123
	v_dual_add_f32 v71, v53, v94 :: v_dual_sub_f32 v122, v119, v125
	v_dual_sub_f32 v46, v94, v113 :: v_dual_sub_f32 v73, v117, v115
	v_dual_sub_f32 v126, v56, v57 :: v_dual_sub_f32 v75, v113, v94
	v_add_f32_e32 v130, v56, v59
	v_sub_f32_e32 v94, v115, v117
	v_dual_sub_f32 v128, v59, v58 :: v_dual_sub_f32 v137, v56, v59
	v_dual_sub_f32 v132, v57, v56 :: v_dual_add_f32 v135, v55, v119
	v_dual_add_f32 v136, v121, v123 :: v_dual_add_f32 v141, v119, v125
	v_dual_sub_f32 v140, v125, v123 :: v_dual_add_f32 v143, v44, v62
	v_dual_add_f32 v144, v64, v65 :: v_dual_sub_f32 v147, v62, v64
	v_dual_sub_f32 v146, v129, v131 :: v_dual_add_f32 v149, v62, v49
	v_dual_add_f32 v152, v45, v127 :: v_dual_sub_f32 v155, v64, v65
	v_dual_add_f32 v153, v129, v131 :: v_dual_sub_f32 v154, v62, v49
	v_add_f32_e32 v158, v127, v133
	v_dual_sub_f32 v138, v57, v58 :: v_dual_sub_f32 v145, v127, v133
	v_dual_sub_f32 v148, v49, v65 :: v_dual_add_f32 v161, v67, v70
	v_dual_sub_f32 v150, v64, v62 :: v_dual_sub_f32 v151, v65, v49
	v_dual_sub_f32 v156, v127, v129 :: v_dual_sub_f32 v157, v133, v131
	v_sub_f32_e32 v127, v129, v127
	v_dual_sub_f32 v159, v131, v133 :: v_dual_add_f32 v50, v50, v47
	v_fma_f32 v62, -0.5, v60, v52
	v_add_f32_e32 v160, v61, v63
	v_fma_f32 v60, -0.5, v66, v52
	v_add_f32_e32 v52, v71, v113
	;; [unrolled: 2-line block ×3, first 2 shown]
	v_fma_f32 v61, -0.5, v74, v53
	v_dual_add_f32 v162, v75, v94 :: v_dual_add_f32 v53, v118, v57
	v_fma_f32 v56, -0.5, v120, v54
	v_add_f32_e32 v118, v126, v128
	v_fma_f32 v54, -0.5, v130, v54
	v_dual_add_f32 v66, v135, v121 :: v_dual_fmamk_f32 v73, v114, 0xbf737871, v63
	v_fma_f32 v57, -0.5, v136, v55
	v_dual_fmac_f32 v55, -0.5, v141 :: v_dual_add_f32 v64, v143, v64
	v_add_f32_e32 v67, v152, v129
	v_fma_f32 v46, -0.5, v144, v44
	v_fma_f32 v44, -0.5, v149, v44
	;; [unrolled: 1-line block ×3, first 2 shown]
	v_dual_fmac_f32 v45, -0.5, v158 :: v_dual_sub_f32 v134, v58, v59
	v_sub_f32_e32 v139, v119, v121
	v_dual_sub_f32 v119, v121, v119 :: v_dual_sub_f32 v142, v123, v125
	v_dual_add_f32 v127, v127, v159 :: v_dual_add_f32 v50, v50, v93
	v_dual_fmamk_f32 v72, v68, 0x3f737871, v62 :: v_dual_fmac_f32 v63, 0x3f737871, v114
	v_fmac_f32_e32 v62, 0xbf737871, v68
	v_fmamk_f32 v74, v69, 0xbf737871, v60
	v_dual_fmac_f32 v60, 0x3f737871, v69 :: v_dual_fmamk_f32 v75, v116, 0x3f737871, v61
	v_dual_add_f32 v94, v52, v115 :: v_dual_fmamk_f32 v71, v137, 0xbf737871, v57
	v_dual_fmac_f32 v61, 0xbf737871, v116 :: v_dual_add_f32 v58, v53, v58
	v_dual_fmac_f32 v57, 0x3f737871, v137 :: v_dual_fmamk_f32 v70, v122, 0x3f737871, v56
	v_fmac_f32_e32 v56, 0xbf737871, v122
	v_fmamk_f32 v52, v124, 0xbf737871, v54
	v_dual_fmac_f32 v54, 0x3f737871, v124 :: v_dual_fmamk_f32 v53, v138, 0x3f737871, v55
	v_add_f32_e32 v115, v66, v123
	v_fmac_f32_e32 v55, 0xbf737871, v138
	v_dual_add_f32 v123, v64, v65 :: v_dual_fmamk_f32 v64, v145, 0x3f737871, v46
	v_fmac_f32_e32 v46, 0xbf737871, v145
	v_fmamk_f32 v66, v146, 0xbf737871, v44
	v_fmac_f32_e32 v44, 0x3f737871, v146
	v_dual_add_f32 v130, v67, v131 :: v_dual_add_f32 v93, v50, v112
	v_fmamk_f32 v65, v154, 0xbf737871, v47
	v_fmac_f32_e32 v47, 0x3f737871, v154
	v_fmamk_f32 v67, v155, 0x3f737871, v45
	v_dual_fmac_f32 v45, 0xbf737871, v155 :: v_dual_add_f32 v120, v132, v134
	v_add_f32_e32 v121, v139, v140
	v_dual_add_f32 v119, v119, v142 :: v_dual_add_f32 v128, v150, v151
	v_dual_add_f32 v126, v147, v148 :: v_dual_add_f32 v129, v156, v157
	v_dual_fmac_f32 v72, 0x3f167918, v69 :: v_dual_fmac_f32 v63, 0x3f167918, v116
	v_dual_fmac_f32 v62, 0xbf167918, v69 :: v_dual_fmac_f32 v73, 0xbf167918, v116
	;; [unrolled: 1-line block ×4, first 2 shown]
	v_dual_add_f32 v94, v94, v117 :: v_dual_fmac_f32 v71, 0xbf167918, v138
	v_dual_add_f32 v68, v58, v59 :: v_dual_fmac_f32 v57, 0x3f167918, v138
	v_dual_fmac_f32 v70, 0x3f167918, v124 :: v_dual_fmac_f32 v55, 0x3f167918, v137
	v_dual_fmac_f32 v56, 0xbf167918, v124 :: v_dual_fmac_f32 v53, 0xbf167918, v137
	v_dual_fmac_f32 v52, 0x3f167918, v122 :: v_dual_add_f32 v59, v130, v133
	v_dual_fmac_f32 v54, 0xbf167918, v122 :: v_dual_fmac_f32 v65, 0xbf167918, v155
	v_add_f32_e32 v69, v115, v125
	v_dual_add_f32 v58, v123, v49 :: v_dual_fmac_f32 v47, 0x3f167918, v155
	v_fmac_f32_e32 v64, 0x3f167918, v146
	v_fmac_f32_e32 v46, 0xbf167918, v146
	v_dual_fmac_f32 v66, 0x3f167918, v145 :: v_dual_fmac_f32 v45, 0x3f167918, v154
	v_dual_fmac_f32 v44, 0xbf167918, v145 :: v_dual_fmac_f32 v67, 0xbf167918, v154
	;; [unrolled: 1-line block ×14, first 2 shown]
	ds_store_b64 v100, v[93:94]
	ds_store_2addr_b64 v100, v[68:69], v[58:59] offset0:34 offset1:68
	ds_store_2addr_b64 v100, v[72:73], v[70:71] offset0:102 offset1:136
	ds_store_2addr_b64 v48, v[60:61], v[54:55] offset0:50 offset1:84
	ds_store_2addr_b64 v100, v[64:65], v[74:75] offset0:170 offset1:204
	ds_store_2addr_b64 v51, v[52:53], v[66:67] offset0:110 offset1:144
	ds_store_2addr_b64 v48, v[44:45], v[62:63] offset0:118 offset1:152
	ds_store_2addr_b64 v48, v[56:57], v[46:47] offset0:186 offset1:220
	global_wb scope:SCOPE_SE
	s_wait_dscnt 0x0
	s_barrier_signal -1
	s_barrier_wait -1
	global_inv scope:SCOPE_SE
	s_and_saveexec_b32 s1, vcc_lo
	s_cbranch_execz .LBB0_13
; %bb.12:
	global_load_b64 v[49:50], v96, s[12:13] offset:4080
	s_add_nc_u64 s[2:3], s[12:13], 0xff0
	s_clause 0xf
	global_load_b64 v[144:145], v96, s[2:3] offset:240
	global_load_b64 v[146:147], v96, s[2:3] offset:480
	;; [unrolled: 1-line block ×16, first 2 shown]
	ds_load_b64 v[112:113], v100
	s_wait_loadcnt_dscnt 0x1000
	v_mul_f32_e32 v114, v113, v50
	v_mul_f32_e32 v51, v112, v50
	s_delay_alu instid0(VALU_DEP_2) | instskip(NEXT) | instid1(VALU_DEP_2)
	v_fma_f32 v50, v112, v49, -v114
	v_fmac_f32_e32 v51, v113, v49
	ds_store_b64 v100, v[50:51]
	ds_load_2addr_b64 v[112:115], v100 offset0:30 offset1:60
	ds_load_2addr_b64 v[116:119], v100 offset0:90 offset1:120
	;; [unrolled: 1-line block ×8, first 2 shown]
	s_wait_loadcnt_dscnt 0xf07
	v_mul_f32_e32 v49, v113, v145
	s_wait_loadcnt_dscnt 0xd06
	v_mul_f32_e32 v176, v117, v149
	v_dual_mul_f32 v50, v112, v145 :: v_dual_mul_f32 v145, v114, v147
	v_mul_f32_e32 v51, v115, v147
	v_mul_f32_e32 v147, v116, v149
	s_wait_loadcnt_dscnt 0xb05
	v_dual_mul_f32 v177, v119, v151 :: v_dual_mul_f32 v178, v121, v153
	s_wait_loadcnt_dscnt 0x904
	v_dual_mul_f32 v149, v118, v151 :: v_dual_mul_f32 v180, v125, v157
	v_mul_f32_e32 v151, v120, v153
	s_wait_loadcnt_dscnt 0x703
	v_dual_mul_f32 v179, v123, v155 :: v_dual_mul_f32 v182, v129, v161
	s_wait_loadcnt_dscnt 0x502
	v_dual_mul_f32 v153, v122, v155 :: v_dual_mul_f32 v184, v133, v165
	;; [unrolled: 5-line block ×3, first 2 shown]
	v_mul_f32_e32 v159, v128, v161
	v_mul_f32_e32 v183, v131, v163
	;; [unrolled: 1-line block ×10, first 2 shown]
	s_wait_loadcnt 0x0
	v_mul_f32_e32 v189, v143, v175
	v_mul_f32_e32 v173, v142, v175
	v_fma_f32 v49, v112, v144, -v49
	v_fmac_f32_e32 v50, v113, v144
	v_fma_f32 v144, v114, v146, -v51
	v_fmac_f32_e32 v145, v115, v146
	v_fma_f32 v146, v116, v148, -v176
	v_fmac_f32_e32 v147, v117, v148
	v_fma_f32 v148, v118, v150, -v177
	v_fmac_f32_e32 v149, v119, v150
	v_fma_f32 v150, v120, v152, -v178
	v_fmac_f32_e32 v151, v121, v152
	v_fma_f32 v152, v122, v154, -v179
	v_fmac_f32_e32 v153, v123, v154
	v_fma_f32 v154, v124, v156, -v180
	v_fmac_f32_e32 v155, v125, v156
	v_fma_f32 v156, v126, v158, -v181
	v_fmac_f32_e32 v157, v127, v158
	v_fma_f32 v158, v128, v160, -v182
	v_fmac_f32_e32 v159, v129, v160
	v_fma_f32 v160, v130, v162, -v183
	v_fmac_f32_e32 v161, v131, v162
	v_fma_f32 v162, v132, v164, -v184
	v_fmac_f32_e32 v163, v133, v164
	v_fma_f32 v164, v134, v166, -v185
	v_fmac_f32_e32 v165, v135, v166
	v_fma_f32 v166, v136, v168, -v186
	v_fmac_f32_e32 v167, v137, v168
	v_fma_f32 v168, v138, v170, -v187
	v_fmac_f32_e32 v169, v139, v170
	v_fma_f32 v170, v140, v172, -v188
	v_fmac_f32_e32 v171, v141, v172
	v_fma_f32 v172, v142, v174, -v189
	v_fmac_f32_e32 v173, v143, v174
	ds_store_2addr_b64 v100, v[49:50], v[144:145] offset0:30 offset1:60
	ds_store_2addr_b64 v100, v[146:147], v[148:149] offset0:90 offset1:120
	;; [unrolled: 1-line block ×8, first 2 shown]
.LBB0_13:
	s_wait_alu 0xfffe
	s_or_b32 exec_lo, exec_lo, s1
	global_wb scope:SCOPE_SE
	s_wait_dscnt 0x0
	s_barrier_signal -1
	s_barrier_wait -1
	global_inv scope:SCOPE_SE
	s_and_saveexec_b32 s1, vcc_lo
	s_cbranch_execz .LBB0_15
; %bb.14:
	v_add_nc_u32_e32 v0, 0x800, v100
	ds_load_b64 v[93:94], v100
	ds_load_2addr_b64 v[72:75], v100 offset0:30 offset1:60
	ds_load_2addr_b64 v[60:63], v100 offset0:90 offset1:120
	;; [unrolled: 1-line block ×8, first 2 shown]
.LBB0_15:
	s_wait_alu 0xfffe
	s_or_b32 exec_lo, exec_lo, s1
	s_wait_dscnt 0x0
	v_dual_sub_f32 v134, v73, v3 :: v_dual_sub_f32 v115, v72, v2
	v_add_f32_e32 v118, v3, v73
	v_dual_sub_f32 v136, v75, v1 :: v_dual_sub_f32 v113, v74, v0
	s_delay_alu instid0(VALU_DEP_3) | instskip(NEXT) | instid1(VALU_DEP_3)
	v_dual_mul_f32 v151, 0xbf65296c, v134 :: v_dual_add_f32 v114, v2, v72
	v_mul_f32_e32 v145, 0x3f3d2fb0, v118
	v_mul_f32_e32 v144, 0xbf2c7751, v134
	;; [unrolled: 1-line block ×3, first 2 shown]
	v_add_f32_e32 v120, v1, v75
	v_fma_f32 v50, 0x3ee437d1, v114, -v151
	v_dual_fmamk_f32 v49, v115, 0xbf2c7751, v145 :: v_dual_add_f32 v112, v0, v74
	v_fma_f32 v48, 0x3f3d2fb0, v114, -v144
	v_fmamk_f32 v51, v115, 0xbf65296c, v152
	s_delay_alu instid0(VALU_DEP_4) | instskip(SKIP_1) | instid1(VALU_DEP_4)
	v_dual_mul_f32 v147, 0x3dbcf732, v120 :: v_dual_add_f32 v50, v93, v50
	v_mul_f32_e32 v146, 0xbf7ee86f, v136
	v_dual_add_f32 v48, v93, v48 :: v_dual_add_f32 v49, v94, v49
	v_dual_sub_f32 v138, v61, v47 :: v_dual_mul_f32 v155, 0xbf4c4adb, v136
	s_delay_alu instid0(VALU_DEP_4) | instskip(NEXT) | instid1(VALU_DEP_4)
	v_fmamk_f32 v117, v113, 0xbf7ee86f, v147
	v_fma_f32 v116, 0x3dbcf732, v112, -v146
	v_dual_mul_f32 v156, 0xbf1a4643, v120 :: v_dual_add_f32 v51, v94, v51
	s_delay_alu instid0(VALU_DEP_4) | instskip(NEXT) | instid1(VALU_DEP_4)
	v_dual_mul_f32 v148, 0xbf4c4adb, v138 :: v_dual_sub_f32 v139, v63, v45
	v_add_f32_e32 v49, v117, v49
	s_delay_alu instid0(VALU_DEP_3) | instskip(SKIP_3) | instid1(VALU_DEP_4)
	v_fmamk_f32 v121, v113, 0xbf4c4adb, v156
	v_sub_f32_e32 v117, v60, v46
	v_add_f32_e32 v48, v116, v48
	v_add_f32_e32 v116, v46, v60
	v_dual_add_f32 v124, v47, v61 :: v_dual_add_f32 v51, v121, v51
	v_fma_f32 v119, 0xbf1a4643, v112, -v155
	v_mul_f32_e32 v159, 0x3e3c28d5, v138
	s_delay_alu instid0(VALU_DEP_4) | instskip(NEXT) | instid1(VALU_DEP_4)
	v_fma_f32 v122, 0xbf1a4643, v116, -v148
	v_mul_f32_e32 v149, 0xbf1a4643, v124
	s_delay_alu instid0(VALU_DEP_4) | instskip(SKIP_1) | instid1(VALU_DEP_3)
	v_dual_add_f32 v127, v45, v63 :: v_dual_add_f32 v50, v119, v50
	v_dual_add_f32 v119, v44, v62 :: v_dual_mul_f32 v150, 0xbe3c28d5, v139
	v_dual_add_f32 v48, v122, v48 :: v_dual_fmamk_f32 v121, v117, 0xbf4c4adb, v149
	v_fma_f32 v122, 0xbf7ba420, v116, -v159
	v_dual_sub_f32 v140, v69, v67 :: v_dual_sub_f32 v141, v71, v65
	s_delay_alu instid0(VALU_DEP_4) | instskip(NEXT) | instid1(VALU_DEP_3)
	v_fma_f32 v125, 0xbf7ba420, v119, -v150
	v_dual_add_f32 v49, v121, v49 :: v_dual_add_f32 v50, v122, v50
	v_add_f32_e32 v122, v66, v68
	v_dual_mul_f32 v161, 0xbf7ba420, v124 :: v_dual_mul_f32 v154, 0xbf7ba420, v127
	v_dual_sub_f32 v121, v62, v44 :: v_dual_add_f32 v130, v67, v69
	v_mul_f32_e32 v158, 0x3f763a35, v141
	s_delay_alu instid0(VALU_DEP_3) | instskip(SKIP_3) | instid1(VALU_DEP_4)
	v_fmamk_f32 v123, v117, 0x3e3c28d5, v161
	v_add_f32_e32 v48, v125, v48
	v_dual_mul_f32 v167, 0x3f2c7751, v140 :: v_dual_sub_f32 v142, v53, v59
	v_mul_f32_e32 v157, 0xbf59a7d5, v130
	v_add_f32_e32 v51, v123, v51
	v_sub_f32_e32 v123, v68, v66
	v_mul_f32_e32 v153, 0x3f06c442, v140
	v_mul_f32_e32 v169, 0x3f3d2fb0, v130
	global_wb scope:SCOPE_SE
	s_barrier_signal -1
	s_barrier_wait -1
	v_fma_f32 v129, 0xbf59a7d5, v122, -v153
	v_mul_f32_e32 v165, 0xbe8c1d8e, v127
	global_inv scope:SCOPE_SE
	v_mul_f32_e32 v162, 0x3f65296c, v142
	v_dual_add_f32 v48, v129, v48 :: v_dual_mul_f32 v163, 0x3f763a35, v139
	v_fmamk_f32 v128, v121, 0x3f763a35, v165
	v_add_f32_e32 v133, v65, v71
	v_fma_f32 v129, 0x3f3d2fb0, v122, -v167
	s_delay_alu instid0(VALU_DEP_4) | instskip(SKIP_1) | instid1(VALU_DEP_4)
	v_fma_f32 v126, 0xbe8c1d8e, v119, -v163
	v_fmamk_f32 v125, v121, 0xbe3c28d5, v154
	v_dual_add_f32 v51, v128, v51 :: v_dual_mul_f32 v160, 0xbe8c1d8e, v133
	s_delay_alu instid0(VALU_DEP_3) | instskip(NEXT) | instid1(VALU_DEP_3)
	v_add_f32_e32 v50, v126, v50
	v_dual_sub_f32 v126, v70, v64 :: v_dual_add_f32 v49, v125, v49
	v_fmamk_f32 v128, v123, 0x3f06c442, v157
	s_delay_alu instid0(VALU_DEP_3) | instskip(SKIP_1) | instid1(VALU_DEP_3)
	v_dual_add_f32 v135, v59, v53 :: v_dual_add_f32 v50, v129, v50
	v_dual_add_f32 v125, v64, v70 :: v_dual_mul_f32 v170, 0xbeb8f4ab, v141
	v_dual_add_f32 v49, v128, v49 :: v_dual_fmamk_f32 v128, v126, 0x3f763a35, v160
	v_sub_f32_e32 v129, v52, v58
	s_delay_alu instid0(VALU_DEP_3) | instskip(NEXT) | instid1(VALU_DEP_3)
	v_fma_f32 v132, 0xbe8c1d8e, v125, -v158
	v_dual_add_f32 v49, v128, v49 :: v_dual_add_f32 v128, v58, v52
	s_delay_alu instid0(VALU_DEP_2) | instskip(SKIP_1) | instid1(VALU_DEP_3)
	v_add_f32_e32 v48, v132, v48
	v_mul_f32_e32 v172, 0x3f6eb680, v133
	v_fma_f32 v137, 0x3ee437d1, v128, -v162
	v_fmamk_f32 v131, v123, 0x3f2c7751, v169
	s_delay_alu instid0(VALU_DEP_3) | instskip(SKIP_1) | instid1(VALU_DEP_3)
	v_fmamk_f32 v132, v126, 0xbeb8f4ab, v172
	v_mul_f32_e32 v164, 0x3ee437d1, v135
	v_dual_add_f32 v48, v137, v48 :: v_dual_add_f32 v51, v131, v51
	v_fma_f32 v131, 0x3f6eb680, v125, -v170
	v_mul_f32_e32 v173, 0x3dbcf732, v135
	v_add_f32_e32 v137, v57, v55
	s_delay_alu instid0(VALU_DEP_4) | instskip(SKIP_2) | instid1(VALU_DEP_4)
	v_dual_add_f32 v51, v132, v51 :: v_dual_sub_f32 v132, v54, v56
	v_mul_f32_e32 v171, 0xbf7ee86f, v142
	v_dual_add_f32 v50, v131, v50 :: v_dual_fmamk_f32 v131, v129, 0x3f65296c, v164
	v_mul_f32_e32 v168, 0x3f6eb680, v137
	v_mul_f32_e32 v175, 0xbf59a7d5, v137
	s_delay_alu instid0(VALU_DEP_4) | instskip(NEXT) | instid1(VALU_DEP_1)
	v_fma_f32 v143, 0x3dbcf732, v128, -v171
	v_dual_fmamk_f32 v179, v132, 0xbf06c442, v175 :: v_dual_add_f32 v176, v143, v50
	v_sub_f32_e32 v143, v55, v57
	v_dual_add_f32 v49, v131, v49 :: v_dual_fmamk_f32 v50, v129, 0xbf7ee86f, v173
	s_delay_alu instid0(VALU_DEP_2) | instskip(SKIP_1) | instid1(VALU_DEP_3)
	v_dual_add_f32 v131, v56, v54 :: v_dual_mul_f32 v166, 0x3eb8f4ab, v143
	v_mul_f32_e32 v174, 0xbf06c442, v143
	v_add_f32_e32 v177, v50, v51
	v_fmamk_f32 v51, v132, 0x3eb8f4ab, v168
	s_delay_alu instid0(VALU_DEP_4) | instskip(NEXT) | instid1(VALU_DEP_4)
	v_fma_f32 v50, 0x3f6eb680, v131, -v166
	v_fma_f32 v178, 0xbf59a7d5, v131, -v174
	s_delay_alu instid0(VALU_DEP_3) | instskip(NEXT) | instid1(VALU_DEP_3)
	v_add_f32_e32 v51, v51, v49
	v_dual_add_f32 v49, v179, v177 :: v_dual_add_f32 v50, v50, v48
	s_delay_alu instid0(VALU_DEP_3)
	v_add_f32_e32 v48, v178, v176
	s_and_saveexec_b32 s1, vcc_lo
	s_cbranch_execz .LBB0_17
; %bb.16:
	v_dual_add_f32 v73, v73, v94 :: v_dual_add_f32 v72, v72, v93
	v_mul_f32_e32 v192, 0x3f763a35, v136
	v_mul_f32_e32 v186, 0xbe8c1d8e, v120
	v_mul_f32_e32 v189, 0x3dbcf732, v130
	s_delay_alu instid0(VALU_DEP_4) | instskip(SKIP_2) | instid1(VALU_DEP_3)
	v_dual_add_f32 v73, v75, v73 :: v_dual_add_f32 v72, v74, v72
	v_mul_f32_e32 v74, 0xbf65296c, v121
	v_fmamk_f32 v193, v112, 0xbe8c1d8e, v192
	v_dual_mul_f32 v188, 0xbf59a7d5, v127 :: v_dual_add_f32 v61, v61, v73
	s_delay_alu instid0(VALU_DEP_4) | instskip(SKIP_3) | instid1(VALU_DEP_4)
	v_add_f32_e32 v60, v60, v72
	v_mul_f32_e32 v190, 0x3f3d2fb0, v133
	v_mul_f32_e32 v184, 0xbf763a35, v132
	;; [unrolled: 1-line block ×3, first 2 shown]
	v_dual_add_f32 v61, v63, v61 :: v_dual_add_f32 v60, v62, v60
	v_mul_f32_e32 v179, 0x3f2c7751, v129
	v_mul_f32_e32 v201, 0x3f65296c, v143
	;; [unrolled: 1-line block ×3, first 2 shown]
	s_delay_alu instid0(VALU_DEP_4) | instskip(SKIP_3) | instid1(VALU_DEP_4)
	v_dual_add_f32 v61, v69, v61 :: v_dual_add_f32 v60, v68, v60
	v_mul_f32_e32 v191, 0xbf4c4adb, v134
	v_mul_f32_e32 v185, 0xbf1a4643, v118
	;; [unrolled: 1-line block ×3, first 2 shown]
	v_dual_add_f32 v61, v71, v61 :: v_dual_add_f32 v60, v70, v60
	v_mul_f32_e32 v71, 0x3f2c7751, v117
	v_mul_f32_e32 v203, 0x3dbcf732, v137
	s_delay_alu instid0(VALU_DEP_3) | instskip(NEXT) | instid1(VALU_DEP_1)
	v_dual_add_f32 v53, v53, v61 :: v_dual_add_f32 v52, v52, v60
	v_dual_add_f32 v53, v55, v53 :: v_dual_add_f32 v52, v54, v52
	s_delay_alu instid0(VALU_DEP_1) | instskip(NEXT) | instid1(VALU_DEP_1)
	v_dual_add_f32 v53, v57, v53 :: v_dual_add_f32 v52, v56, v52
	v_dual_add_f32 v53, v59, v53 :: v_dual_add_f32 v52, v58, v52
	s_delay_alu instid0(VALU_DEP_1) | instskip(NEXT) | instid1(VALU_DEP_2)
	v_dual_mul_f32 v58, 0x3f6eb680, v118 :: v_dual_add_f32 v53, v65, v53
	v_dual_add_f32 v52, v64, v52 :: v_dual_mul_f32 v65, 0xbf4c4adb, v113
	s_delay_alu instid0(VALU_DEP_1) | instskip(NEXT) | instid1(VALU_DEP_2)
	v_dual_add_f32 v53, v67, v53 :: v_dual_add_f32 v52, v66, v52
	v_sub_f32_e32 v65, v156, v65
	v_mul_f32_e32 v67, 0xbf1a4643, v112
	v_mul_f32_e32 v66, 0x3f763a35, v121
	s_delay_alu instid0(VALU_DEP_4) | instskip(NEXT) | instid1(VALU_DEP_3)
	v_dual_add_f32 v45, v45, v53 :: v_dual_add_f32 v44, v44, v52
	v_dual_mul_f32 v156, 0xbf7ee86f, v134 :: v_dual_add_f32 v67, v67, v155
	s_delay_alu instid0(VALU_DEP_2) | instskip(NEXT) | instid1(VALU_DEP_3)
	v_dual_sub_f32 v66, v165, v66 :: v_dual_add_f32 v45, v47, v45
	v_add_f32_e32 v44, v46, v44
	v_mul_f32_e32 v155, 0xbe8c1d8e, v124
	v_mul_f32_e32 v165, 0xbf1a4643, v135
	s_delay_alu instid0(VALU_DEP_3) | instskip(NEXT) | instid1(VALU_DEP_1)
	v_dual_add_f32 v1, v1, v45 :: v_dual_add_f32 v0, v0, v44
	v_dual_add_f32 v61, v3, v1 :: v_dual_add_f32 v60, v2, v0
	v_fmamk_f32 v0, v115, 0x3eb8f4ab, v58
	s_delay_alu instid0(VALU_DEP_1) | instskip(SKIP_2) | instid1(VALU_DEP_2)
	v_add_f32_e32 v1, v94, v0
	v_mul_f32_e32 v0, 0x3f3d2fb0, v120
	v_fmac_f32_e32 v58, 0xbeb8f4ab, v115
	v_fmamk_f32 v2, v113, 0x3f2c7751, v0
	s_delay_alu instid0(VALU_DEP_1) | instskip(SKIP_2) | instid1(VALU_DEP_2)
	v_add_f32_e32 v3, v2, v1
	v_mul_f32_e32 v59, 0xbeb8f4ab, v134
	v_mul_f32_e32 v2, 0xbf2c7751, v136
	v_fmamk_f32 v1, v114, 0x3f6eb680, v59
	s_delay_alu instid0(VALU_DEP_1) | instskip(SKIP_1) | instid1(VALU_DEP_2)
	v_dual_fmamk_f32 v44, v112, 0x3f3d2fb0, v2 :: v_dual_add_f32 v1, v93, v1
	v_fmac_f32_e32 v0, 0xbf2c7751, v113
	v_add_f32_e32 v45, v44, v1
	v_mul_f32_e32 v1, 0x3ee437d1, v124
	s_delay_alu instid0(VALU_DEP_1) | instskip(NEXT) | instid1(VALU_DEP_1)
	v_fmamk_f32 v44, v117, 0x3f65296c, v1
	v_add_f32_e32 v46, v44, v3
	v_mul_f32_e32 v44, 0xbf65296c, v138
	v_fma_f32 v59, 0x3f6eb680, v114, -v59
	s_delay_alu instid0(VALU_DEP_2) | instskip(NEXT) | instid1(VALU_DEP_1)
	v_fmamk_f32 v3, v116, 0x3ee437d1, v44
	v_add_f32_e32 v45, v3, v45
	v_mul_f32_e32 v3, 0x3dbcf732, v127
	v_fma_f32 v2, 0x3f3d2fb0, v112, -v2
	s_delay_alu instid0(VALU_DEP_2) | instskip(NEXT) | instid1(VALU_DEP_1)
	v_fmamk_f32 v47, v121, 0x3f7ee86f, v3
	v_dual_add_f32 v47, v47, v46 :: v_dual_mul_f32 v46, 0xbf7ee86f, v139
	s_delay_alu instid0(VALU_DEP_1) | instskip(SKIP_1) | instid1(VALU_DEP_2)
	v_fmamk_f32 v52, v119, 0x3dbcf732, v46
	v_fmac_f32_e32 v3, 0xbf7ee86f, v121
	v_add_f32_e32 v53, v52, v45
	v_mul_f32_e32 v45, 0xbe8c1d8e, v130
	s_delay_alu instid0(VALU_DEP_1) | instskip(NEXT) | instid1(VALU_DEP_1)
	v_fmamk_f32 v52, v123, 0x3f763a35, v45
	v_add_f32_e32 v54, v52, v47
	v_mul_f32_e32 v52, 0xbf763a35, v140
	s_delay_alu instid0(VALU_DEP_1) | instskip(NEXT) | instid1(VALU_DEP_1)
	v_fmamk_f32 v47, v122, 0xbe8c1d8e, v52
	v_add_f32_e32 v53, v47, v53
	v_mul_f32_e32 v47, 0xbf1a4643, v133
	v_fma_f32 v44, 0x3ee437d1, v116, -v44
	s_delay_alu instid0(VALU_DEP_2) | instskip(NEXT) | instid1(VALU_DEP_1)
	v_fmamk_f32 v55, v126, 0x3f4c4adb, v47
	v_dual_add_f32 v55, v55, v54 :: v_dual_mul_f32 v54, 0xbf4c4adb, v141
	s_delay_alu instid0(VALU_DEP_1) | instskip(SKIP_1) | instid1(VALU_DEP_2)
	v_fmamk_f32 v56, v125, 0xbf1a4643, v54
	v_fmac_f32_e32 v47, 0xbf4c4adb, v126
	v_add_f32_e32 v57, v56, v53
	v_mul_f32_e32 v53, 0xbf59a7d5, v135
	s_delay_alu instid0(VALU_DEP_1) | instskip(NEXT) | instid1(VALU_DEP_1)
	v_fmamk_f32 v56, v129, 0x3f06c442, v53
	v_add_f32_e32 v62, v56, v55
	v_mul_f32_e32 v56, 0xbf06c442, v142
	v_fmac_f32_e32 v1, 0xbf65296c, v117
	s_delay_alu instid0(VALU_DEP_2) | instskip(NEXT) | instid1(VALU_DEP_1)
	v_fmamk_f32 v55, v128, 0xbf59a7d5, v56
	v_add_f32_e32 v64, v55, v57
	v_mul_f32_e32 v55, 0xbf7ba420, v137
	s_delay_alu instid0(VALU_DEP_1) | instskip(NEXT) | instid1(VALU_DEP_1)
	v_fmamk_f32 v57, v132, 0x3e3c28d5, v55
	v_add_f32_e32 v63, v57, v62
	v_mul_f32_e32 v57, 0xbe3c28d5, v143
	s_delay_alu instid0(VALU_DEP_1) | instskip(SKIP_1) | instid1(VALU_DEP_2)
	v_fmamk_f32 v62, v131, 0xbf7ba420, v57
	v_fmac_f32_e32 v55, 0xbe3c28d5, v132
	v_add_f32_e32 v62, v62, v64
	v_mul_f32_e32 v64, 0xbf65296c, v115
	s_delay_alu instid0(VALU_DEP_1) | instskip(SKIP_1) | instid1(VALU_DEP_2)
	v_sub_f32_e32 v64, v152, v64
	v_mul_f32_e32 v152, 0xbf4c4adb, v132
	v_dual_fmac_f32 v45, 0xbf763a35, v123 :: v_dual_add_f32 v64, v94, v64
	s_delay_alu instid0(VALU_DEP_1) | instskip(SKIP_1) | instid1(VALU_DEP_1)
	v_dual_fmac_f32 v53, 0xbf06c442, v129 :: v_dual_add_f32 v64, v65, v64
	v_mul_f32_e32 v65, 0x3e3c28d5, v117
	v_sub_f32_e32 v65, v161, v65
	s_delay_alu instid0(VALU_DEP_1) | instskip(NEXT) | instid1(VALU_DEP_1)
	v_dual_mul_f32 v161, 0x3eb8f4ab, v139 :: v_dual_add_f32 v64, v65, v64
	v_dual_mul_f32 v65, 0x3ee437d1, v114 :: v_dual_add_f32 v64, v66, v64
	s_delay_alu instid0(VALU_DEP_1) | instskip(NEXT) | instid1(VALU_DEP_1)
	v_dual_add_f32 v65, v65, v151 :: v_dual_mul_f32 v66, 0xbf7ba420, v116
	v_dual_add_f32 v65, v93, v65 :: v_dual_add_f32 v66, v66, v159
	v_mul_f32_e32 v159, 0x3f763a35, v138
	s_delay_alu instid0(VALU_DEP_2) | instskip(NEXT) | instid1(VALU_DEP_1)
	v_add_f32_e32 v65, v67, v65
	v_dual_add_f32 v65, v66, v65 :: v_dual_mul_f32 v66, 0xbe8c1d8e, v119
	s_delay_alu instid0(VALU_DEP_1) | instskip(NEXT) | instid1(VALU_DEP_1)
	v_dual_add_f32 v66, v66, v163 :: v_dual_mul_f32 v163, 0xbf65296c, v140
	v_dual_add_f32 v65, v66, v65 :: v_dual_mul_f32 v66, 0x3f3d2fb0, v122
	s_delay_alu instid0(VALU_DEP_1) | instskip(NEXT) | instid1(VALU_DEP_1)
	v_dual_add_f32 v66, v66, v167 :: v_dual_mul_f32 v167, 0x3f3d2fb0, v137
	v_add_f32_e32 v65, v66, v65
	v_mul_f32_e32 v66, 0x3f6eb680, v125
	s_delay_alu instid0(VALU_DEP_1) | instskip(SKIP_1) | instid1(VALU_DEP_2)
	v_add_f32_e32 v66, v66, v170
	v_mul_f32_e32 v170, 0x3f65296c, v113
	v_dual_add_f32 v65, v66, v65 :: v_dual_mul_f32 v66, 0x3dbcf732, v128
	s_delay_alu instid0(VALU_DEP_1) | instskip(SKIP_2) | instid1(VALU_DEP_2)
	v_add_f32_e32 v66, v66, v171
	v_mul_f32_e32 v67, 0x3f2c7751, v123
	v_mul_f32_e32 v171, 0xbf7ee86f, v117
	v_dual_add_f32 v66, v66, v65 :: v_dual_sub_f32 v67, v169, v67
	v_mul_f32_e32 v65, 0xbf59a7d5, v131
	s_delay_alu instid0(VALU_DEP_2) | instskip(SKIP_1) | instid1(VALU_DEP_1)
	v_dual_mul_f32 v169, 0xbf06c442, v115 :: v_dual_add_f32 v64, v67, v64
	v_mul_f32_e32 v67, 0xbeb8f4ab, v126
	v_dual_add_f32 v68, v65, v174 :: v_dual_sub_f32 v67, v172, v67
	v_mul_f32_e32 v172, 0x3f4c4adb, v121
	s_delay_alu instid0(VALU_DEP_2) | instskip(NEXT) | instid1(VALU_DEP_1)
	v_dual_add_f32 v64, v67, v64 :: v_dual_mul_f32 v67, 0xbf7ee86f, v129
	v_sub_f32_e32 v67, v173, v67
	s_delay_alu instid0(VALU_DEP_1) | instskip(SKIP_1) | instid1(VALU_DEP_1)
	v_add_f32_e32 v64, v67, v64
	v_mul_f32_e32 v67, 0xbf06c442, v132
	v_sub_f32_e32 v67, v175, v67
	v_mul_f32_e32 v175, 0xbeb8f4ab, v123
	s_delay_alu instid0(VALU_DEP_2) | instskip(SKIP_3) | instid1(VALU_DEP_2)
	v_dual_add_f32 v65, v67, v64 :: v_dual_add_f32 v64, v68, v66
	v_mul_f32_e32 v66, 0xbf2c7751, v115
	v_mul_f32_e32 v67, 0xbf7ee86f, v113
	;; [unrolled: 1-line block ×3, first 2 shown]
	v_dual_sub_f32 v66, v145, v66 :: v_dual_sub_f32 v67, v147, v67
	s_delay_alu instid0(VALU_DEP_2) | instskip(SKIP_1) | instid1(VALU_DEP_3)
	v_add_f32_e32 v68, v68, v144
	v_mul_f32_e32 v144, 0xbe3c28d5, v123
	v_add_f32_e32 v66, v94, v66
	s_delay_alu instid0(VALU_DEP_1) | instskip(NEXT) | instid1(VALU_DEP_1)
	v_dual_add_f32 v66, v67, v66 :: v_dual_mul_f32 v67, 0xbf4c4adb, v117
	v_sub_f32_e32 v67, v149, v67
	s_delay_alu instid0(VALU_DEP_1) | instskip(NEXT) | instid1(VALU_DEP_1)
	v_dual_add_f32 v66, v67, v66 :: v_dual_mul_f32 v67, 0xbe3c28d5, v121
	v_dual_sub_f32 v67, v154, v67 :: v_dual_mul_f32 v154, 0xbf7ba420, v120
	s_delay_alu instid0(VALU_DEP_1) | instskip(NEXT) | instid1(VALU_DEP_1)
	v_dual_add_f32 v66, v67, v66 :: v_dual_mul_f32 v67, 0x3f06c442, v123
	v_sub_f32_e32 v67, v157, v67
	v_mul_f32_e32 v69, 0x3dbcf732, v112
	s_delay_alu instid0(VALU_DEP_2) | instskip(NEXT) | instid1(VALU_DEP_2)
	v_dual_mul_f32 v157, 0xbe3c28d5, v136 :: v_dual_add_f32 v66, v67, v66
	v_add_f32_e32 v69, v69, v146
	v_add_f32_e32 v67, v93, v68
	v_mul_f32_e32 v68, 0xbf1a4643, v116
	s_delay_alu instid0(VALU_DEP_2) | instskip(NEXT) | instid1(VALU_DEP_2)
	v_dual_mul_f32 v146, 0x3f7ee86f, v126 :: v_dual_add_f32 v67, v69, v67
	v_add_f32_e32 v68, v68, v148
	s_delay_alu instid0(VALU_DEP_1) | instskip(SKIP_1) | instid1(VALU_DEP_1)
	v_dual_mul_f32 v148, 0xbeb8f4ab, v129 :: v_dual_add_f32 v67, v68, v67
	v_mul_f32_e32 v68, 0xbf7ba420, v119
	v_add_f32_e32 v68, v68, v150
	s_delay_alu instid0(VALU_DEP_1) | instskip(NEXT) | instid1(VALU_DEP_1)
	v_dual_add_f32 v67, v68, v67 :: v_dual_mul_f32 v68, 0xbf59a7d5, v122
	v_dual_add_f32 v68, v68, v153 :: v_dual_mul_f32 v153, 0x3dbcf732, v118
	s_delay_alu instid0(VALU_DEP_1) | instskip(NEXT) | instid1(VALU_DEP_1)
	v_dual_add_f32 v67, v68, v67 :: v_dual_mul_f32 v68, 0xbe8c1d8e, v125
	v_add_f32_e32 v68, v68, v158
	v_mul_f32_e32 v158, 0x3f6eb680, v127
	s_delay_alu instid0(VALU_DEP_2) | instskip(NEXT) | instid1(VALU_DEP_1)
	v_dual_add_f32 v67, v68, v67 :: v_dual_mul_f32 v68, 0x3ee437d1, v128
	v_add_f32_e32 v68, v68, v162
	v_mul_f32_e32 v69, 0x3f763a35, v126
	v_mul_f32_e32 v162, 0xbf59a7d5, v133
	s_delay_alu instid0(VALU_DEP_3) | instskip(SKIP_1) | instid1(VALU_DEP_4)
	v_add_f32_e32 v68, v68, v67
	v_mul_f32_e32 v67, 0x3f6eb680, v131
	v_dual_sub_f32 v69, v160, v69 :: v_dual_mul_f32 v160, 0x3ee437d1, v130
	s_delay_alu instid0(VALU_DEP_2) | instskip(NEXT) | instid1(VALU_DEP_2)
	v_add_f32_e32 v70, v67, v166
	v_dual_add_f32 v66, v69, v66 :: v_dual_mul_f32 v69, 0x3f65296c, v129
	s_delay_alu instid0(VALU_DEP_1) | instskip(SKIP_1) | instid1(VALU_DEP_2)
	v_dual_mul_f32 v166, 0x3f4c4adb, v142 :: v_dual_sub_f32 v69, v164, v69
	v_mul_f32_e32 v164, 0xbf06c442, v141
	v_dual_add_f32 v66, v69, v66 :: v_dual_mul_f32 v69, 0x3eb8f4ab, v132
	s_delay_alu instid0(VALU_DEP_1) | instskip(NEXT) | instid1(VALU_DEP_1)
	v_dual_sub_f32 v69, v168, v69 :: v_dual_mul_f32 v168, 0x3f2c7751, v143
	v_dual_add_f32 v67, v69, v66 :: v_dual_add_f32 v66, v70, v68
	v_mul_f32_e32 v70, 0x3f06c442, v113
	v_mul_lo_u16 v68, v97, 17
	v_mul_f32_e32 v69, 0xbf763a35, v115
	s_delay_alu instid0(VALU_DEP_2) | instskip(NEXT) | instid1(VALU_DEP_1)
	v_and_b32_e32 v68, 0xffff, v68
	v_lshl_add_u32 v68, v68, 3, v98
	ds_store_2addr_b64 v68, v[60:61], v[62:63] offset1:1
	ds_store_2addr_b64 v68, v[66:67], v[64:65] offset0:2 offset1:3
	v_fma_f32 v60, 0xbe8c1d8e, v118, -v69
	v_fma_f32 v61, 0xbf59a7d5, v120, -v70
	v_mul_f32_e32 v62, 0x3f06c442, v136
	v_fmamk_f32 v64, v112, 0xbf7ba420, v157
	s_delay_alu instid0(VALU_DEP_4) | instskip(SKIP_1) | instid1(VALU_DEP_4)
	v_dual_mul_f32 v63, 0xbf4c4adb, v143 :: v_dual_add_f32 v60, v94, v60
	v_mul_f32_e32 v66, 0x3f65296c, v136
	v_fma_f32 v73, 0xbf59a7d5, v112, -v62
	v_fmac_f32_e32 v62, 0xbf59a7d5, v112
	s_delay_alu instid0(VALU_DEP_4)
	v_fma_f32 v151, 0xbf1a4643, v131, -v63
	v_add_f32_e32 v60, v61, v60
	v_fma_f32 v61, 0x3f3d2fb0, v124, -v71
	v_fmac_f32_e32 v63, 0xbf1a4643, v131
	v_fma_f32 v174, 0x3ee437d1, v112, -v66
	v_fmac_f32_e32 v66, 0x3ee437d1, v112
	v_fma_f32 v65, 0x3ee437d1, v120, -v170
	v_dual_add_f32 v60, v61, v60 :: v_dual_mul_f32 v61, 0xbf763a35, v134
	v_mul_f32_e32 v67, 0xbf763a35, v143
	v_mul_f32_e32 v143, 0x3f7ee86f, v143
	s_delay_alu instid0(VALU_DEP_3) | instskip(SKIP_1) | instid1(VALU_DEP_4)
	v_fma_f32 v72, 0xbe8c1d8e, v114, -v61
	v_fmac_f32_e32 v61, 0xbe8c1d8e, v114
	v_fma_f32 v183, 0xbe8c1d8e, v131, -v67
	v_fmac_f32_e32 v67, 0xbe8c1d8e, v131
	s_delay_alu instid0(VALU_DEP_3) | instskip(NEXT) | instid1(VALU_DEP_1)
	v_add_f32_e32 v61, v93, v61
	v_add_f32_e32 v61, v62, v61
	v_fma_f32 v62, 0x3ee437d1, v127, -v74
	s_delay_alu instid0(VALU_DEP_1) | instskip(SKIP_1) | instid1(VALU_DEP_1)
	v_add_f32_e32 v60, v62, v60
	v_mul_f32_e32 v62, 0x3f2c7751, v138
	v_fma_f32 v75, 0x3f3d2fb0, v116, -v62
	v_fmac_f32_e32 v62, 0x3f3d2fb0, v116
	s_delay_alu instid0(VALU_DEP_1) | instskip(SKIP_1) | instid1(VALU_DEP_1)
	v_add_f32_e32 v61, v62, v61
	v_fma_f32 v62, 0xbf7ba420, v130, -v144
	v_add_f32_e32 v60, v62, v60
	v_mul_f32_e32 v62, 0xbf65296c, v139
	s_delay_alu instid0(VALU_DEP_1) | instskip(SKIP_1) | instid1(VALU_DEP_1)
	v_fma_f32 v145, 0x3ee437d1, v119, -v62
	v_fmac_f32_e32 v62, 0x3ee437d1, v119
	v_add_f32_e32 v61, v62, v61
	v_fma_f32 v62, 0x3dbcf732, v133, -v146
	s_delay_alu instid0(VALU_DEP_1) | instskip(SKIP_1) | instid1(VALU_DEP_1)
	v_add_f32_e32 v60, v62, v60
	v_mul_f32_e32 v62, 0xbe3c28d5, v140
	v_fma_f32 v147, 0xbf7ba420, v122, -v62
	v_fmac_f32_e32 v62, 0xbf7ba420, v122
	s_delay_alu instid0(VALU_DEP_1) | instskip(SKIP_1) | instid1(VALU_DEP_1)
	v_add_f32_e32 v61, v62, v61
	v_fma_f32 v62, 0x3f6eb680, v135, -v148
	v_add_f32_e32 v60, v62, v60
	v_mul_f32_e32 v62, 0x3f7ee86f, v141
	s_delay_alu instid0(VALU_DEP_1) | instskip(SKIP_1) | instid1(VALU_DEP_1)
	v_fma_f32 v149, 0x3dbcf732, v125, -v62
	v_fmac_f32_e32 v62, 0x3dbcf732, v125
	v_dual_add_f32 v61, v62, v61 :: v_dual_mul_f32 v62, 0xbeb8f4ab, v142
	s_delay_alu instid0(VALU_DEP_1) | instskip(SKIP_1) | instid1(VALU_DEP_1)
	v_fma_f32 v150, 0x3f6eb680, v128, -v62
	v_fmac_f32_e32 v62, 0x3f6eb680, v128
	v_add_f32_e32 v62, v62, v61
	v_fma_f32 v61, 0xbf1a4643, v137, -v152
	s_delay_alu instid0(VALU_DEP_1) | instskip(SKIP_2) | instid1(VALU_DEP_1)
	v_dual_add_f32 v61, v61, v60 :: v_dual_add_f32 v60, v63, v62
	v_fmamk_f32 v63, v113, 0x3e3c28d5, v154
	v_fmamk_f32 v62, v115, 0x3f7ee86f, v153
	v_dual_fmac_f32 v153, 0xbf7ee86f, v115 :: v_dual_add_f32 v62, v94, v62
	s_delay_alu instid0(VALU_DEP_1) | instskip(NEXT) | instid1(VALU_DEP_1)
	v_dual_add_f32 v62, v63, v62 :: v_dual_fmamk_f32 v63, v117, 0xbf763a35, v155
	v_dual_fmac_f32 v155, 0x3f763a35, v117 :: v_dual_add_f32 v62, v63, v62
	v_fmamk_f32 v63, v114, 0x3dbcf732, v156
	s_delay_alu instid0(VALU_DEP_1) | instskip(NEXT) | instid1(VALU_DEP_1)
	v_add_f32_e32 v63, v93, v63
	v_dual_add_f32 v63, v64, v63 :: v_dual_fmamk_f32 v64, v121, 0xbeb8f4ab, v158
	s_delay_alu instid0(VALU_DEP_1) | instskip(SKIP_1) | instid1(VALU_DEP_1)
	v_add_f32_e32 v62, v64, v62
	v_fmamk_f32 v64, v116, 0xbe8c1d8e, v159
	v_dual_add_f32 v63, v64, v63 :: v_dual_fmamk_f32 v64, v123, 0x3f65296c, v160
	s_delay_alu instid0(VALU_DEP_1) | instskip(SKIP_1) | instid1(VALU_DEP_1)
	v_add_f32_e32 v62, v64, v62
	v_fmamk_f32 v64, v119, 0x3f6eb680, v161
	;; [unrolled: 4-line block ×3, first 2 shown]
	v_dual_add_f32 v63, v64, v63 :: v_dual_fmamk_f32 v64, v125, 0xbf59a7d5, v164
	s_delay_alu instid0(VALU_DEP_1) | instskip(NEXT) | instid1(VALU_DEP_1)
	v_dual_add_f32 v63, v64, v63 :: v_dual_fmamk_f32 v64, v129, 0xbf4c4adb, v165
	v_dual_fmac_f32 v165, 0x3f4c4adb, v129 :: v_dual_add_f32 v62, v64, v62
	v_fmamk_f32 v64, v128, 0xbf1a4643, v166
	s_delay_alu instid0(VALU_DEP_1) | instskip(SKIP_2) | instid1(VALU_DEP_2)
	v_add_f32_e32 v64, v64, v63
	v_fmamk_f32 v63, v132, 0xbf2c7751, v167
	v_fmac_f32_e32 v167, 0x3f2c7751, v132
	v_add_f32_e32 v63, v63, v62
	v_fmamk_f32 v62, v131, 0x3f3d2fb0, v168
	s_delay_alu instid0(VALU_DEP_1) | instskip(SKIP_1) | instid1(VALU_DEP_1)
	v_add_f32_e32 v62, v62, v64
	v_fma_f32 v64, 0xbf59a7d5, v118, -v169
	v_add_f32_e32 v64, v94, v64
	s_delay_alu instid0(VALU_DEP_1) | instskip(SKIP_1) | instid1(VALU_DEP_1)
	v_add_f32_e32 v64, v65, v64
	v_fma_f32 v65, 0x3dbcf732, v124, -v171
	v_add_f32_e32 v64, v65, v64
	v_fma_f32 v65, 0xbf1a4643, v127, -v172
	s_delay_alu instid0(VALU_DEP_1) | instskip(NEXT) | instid1(VALU_DEP_1)
	v_dual_add_f32 v64, v65, v64 :: v_dual_mul_f32 v65, 0xbf06c442, v134
	v_fma_f32 v173, 0xbf59a7d5, v114, -v65
	v_fmac_f32_e32 v65, 0xbf59a7d5, v114
	s_delay_alu instid0(VALU_DEP_1) | instskip(NEXT) | instid1(VALU_DEP_1)
	v_dual_fmac_f32 v162, 0xbf06c442, v126 :: v_dual_add_f32 v65, v93, v65
	v_add_f32_e32 v65, v66, v65
	v_fma_f32 v66, 0x3f6eb680, v130, -v175
	s_delay_alu instid0(VALU_DEP_1) | instskip(SKIP_1) | instid1(VALU_DEP_1)
	v_add_f32_e32 v64, v66, v64
	v_mul_f32_e32 v66, 0xbf7ee86f, v138
	v_fma_f32 v176, 0x3dbcf732, v116, -v66
	v_fmac_f32_e32 v66, 0x3dbcf732, v116
	s_delay_alu instid0(VALU_DEP_1) | instskip(SKIP_2) | instid1(VALU_DEP_2)
	v_add_f32_e32 v65, v66, v65
	v_fma_f32 v66, 0xbf7ba420, v133, -v177
	v_fmac_f32_e32 v154, 0xbe3c28d5, v113
	v_add_f32_e32 v64, v66, v64
	v_mul_f32_e32 v66, 0x3f4c4adb, v139
	s_delay_alu instid0(VALU_DEP_1) | instskip(SKIP_1) | instid1(VALU_DEP_1)
	v_fma_f32 v178, 0xbf1a4643, v119, -v66
	v_fmac_f32_e32 v66, 0xbf1a4643, v119
	v_add_f32_e32 v65, v66, v65
	v_fma_f32 v66, 0x3f3d2fb0, v135, -v179
	s_delay_alu instid0(VALU_DEP_1) | instskip(SKIP_1) | instid1(VALU_DEP_1)
	v_add_f32_e32 v64, v66, v64
	v_mul_f32_e32 v66, 0xbeb8f4ab, v140
	v_fma_f32 v180, 0x3f6eb680, v122, -v66
	v_fmac_f32_e32 v66, 0x3f6eb680, v122
	s_delay_alu instid0(VALU_DEP_1) | instskip(SKIP_2) | instid1(VALU_DEP_2)
	v_add_f32_e32 v65, v66, v65
	v_mul_f32_e32 v66, 0xbe3c28d5, v141
	v_fmac_f32_e32 v158, 0x3eb8f4ab, v121
	v_fma_f32 v181, 0xbf7ba420, v125, -v66
	v_fmac_f32_e32 v66, 0xbf7ba420, v125
	s_delay_alu instid0(VALU_DEP_1) | instskip(NEXT) | instid1(VALU_DEP_1)
	v_dual_add_f32 v65, v66, v65 :: v_dual_mul_f32 v66, 0x3f2c7751, v142
	v_fma_f32 v182, 0x3f3d2fb0, v128, -v66
	v_fmac_f32_e32 v66, 0x3f3d2fb0, v128
	s_delay_alu instid0(VALU_DEP_1) | instskip(SKIP_1) | instid1(VALU_DEP_1)
	v_add_f32_e32 v66, v66, v65
	v_fma_f32 v65, 0xbe8c1d8e, v137, -v184
	v_dual_add_f32 v65, v65, v64 :: v_dual_add_f32 v64, v67, v66
	v_fmamk_f32 v66, v115, 0x3f4c4adb, v185
	v_fmamk_f32 v67, v113, 0xbf763a35, v186
	v_fmac_f32_e32 v185, 0xbf4c4adb, v115
	v_fmac_f32_e32 v186, 0x3f763a35, v113
	;; [unrolled: 1-line block ×3, first 2 shown]
	v_add_f32_e32 v66, v94, v66
	s_delay_alu instid0(VALU_DEP_1) | instskip(NEXT) | instid1(VALU_DEP_1)
	v_dual_add_f32 v66, v67, v66 :: v_dual_fmamk_f32 v67, v117, 0x3eb8f4ab, v187
	v_dual_fmac_f32 v187, 0xbeb8f4ab, v117 :: v_dual_add_f32 v66, v67, v66
	v_fmamk_f32 v67, v121, 0x3f06c442, v188
	s_delay_alu instid0(VALU_DEP_1) | instskip(SKIP_1) | instid1(VALU_DEP_1)
	v_add_f32_e32 v66, v67, v66
	v_fmamk_f32 v67, v123, 0xbf7ee86f, v189
	v_dual_add_f32 v66, v67, v66 :: v_dual_fmamk_f32 v67, v126, 0x3f2c7751, v190
	s_delay_alu instid0(VALU_DEP_1) | instskip(NEXT) | instid1(VALU_DEP_1)
	v_dual_add_f32 v66, v67, v66 :: v_dual_fmamk_f32 v67, v114, 0xbf1a4643, v191
	v_add_f32_e32 v67, v93, v67
	s_delay_alu instid0(VALU_DEP_1) | instskip(SKIP_1) | instid1(VALU_DEP_1)
	v_add_f32_e32 v67, v193, v67
	v_mul_f32_e32 v193, 0xbf7ba420, v135
	v_fmamk_f32 v194, v129, 0x3e3c28d5, v193
	s_delay_alu instid0(VALU_DEP_1) | instskip(SKIP_2) | instid1(VALU_DEP_2)
	v_dual_fmac_f32 v193, 0xbe3c28d5, v129 :: v_dual_add_f32 v66, v194, v66
	v_mul_f32_e32 v194, 0xbeb8f4ab, v138
	v_mul_f32_e32 v138, 0xbf06c442, v138
	v_fmamk_f32 v195, v116, 0x3f6eb680, v194
	s_delay_alu instid0(VALU_DEP_1) | instskip(SKIP_2) | instid1(VALU_DEP_2)
	v_add_f32_e32 v67, v195, v67
	v_mul_f32_e32 v195, 0xbf06c442, v139
	v_mul_f32_e32 v139, 0x3f2c7751, v139
	v_fmamk_f32 v196, v119, 0xbf59a7d5, v195
	s_delay_alu instid0(VALU_DEP_1) | instskip(SKIP_1) | instid1(VALU_DEP_2)
	v_dual_add_f32 v67, v196, v67 :: v_dual_mul_f32 v196, 0x3f7ee86f, v140
	v_mul_f32_e32 v140, 0xbf4c4adb, v140
	v_fmamk_f32 v197, v122, 0x3dbcf732, v196
	s_delay_alu instid0(VALU_DEP_1) | instskip(SKIP_2) | instid1(VALU_DEP_2)
	v_add_f32_e32 v67, v197, v67
	v_mul_f32_e32 v197, 0xbf2c7751, v141
	v_mul_f32_e32 v141, 0x3f65296c, v141
	v_fmamk_f32 v198, v125, 0x3f3d2fb0, v197
	s_delay_alu instid0(VALU_DEP_1) | instskip(NEXT) | instid1(VALU_DEP_1)
	v_dual_add_f32 v67, v198, v67 :: v_dual_mul_f32 v198, 0xbe3c28d5, v142
	v_fmamk_f32 v199, v128, 0xbf7ba420, v198
	s_delay_alu instid0(VALU_DEP_1) | instskip(SKIP_1) | instid1(VALU_DEP_1)
	v_add_f32_e32 v199, v199, v67
	v_fmamk_f32 v67, v132, 0xbf65296c, v200
	v_add_f32_e32 v67, v67, v66
	v_fmamk_f32 v66, v131, 0x3ee437d1, v201
	s_delay_alu instid0(VALU_DEP_1)
	v_add_f32_e32 v66, v66, v199
	ds_store_2addr_b64 v68, v[62:63], v[60:61] offset0:4 offset1:5
	ds_store_2addr_b64 v68, v[66:67], v[64:65] offset0:6 offset1:7
	v_mul_f32_e32 v67, 0xbe3c28d5, v134
	v_mul_f32_e32 v62, 0xbf7ba420, v118
	;; [unrolled: 1-line block ×6, first 2 shown]
	v_fmamk_f32 v60, v115, 0x3e3c28d5, v62
	v_fmamk_f32 v61, v113, 0xbeb8f4ab, v63
	v_dual_mul_f32 v134, 0x3eb8f4ab, v136 :: v_dual_fmac_f32 v63, 0x3eb8f4ab, v113
	s_delay_alu instid0(VALU_DEP_3) | instskip(NEXT) | instid1(VALU_DEP_2)
	v_dual_fmac_f32 v189, 0x3f7ee86f, v123 :: v_dual_add_f32 v60, v94, v60
	v_fmamk_f32 v136, v112, 0x3f6eb680, v134
	s_delay_alu instid0(VALU_DEP_2) | instskip(SKIP_1) | instid1(VALU_DEP_1)
	v_add_f32_e32 v60, v61, v60
	v_fmamk_f32 v61, v117, 0x3f06c442, v64
	v_add_f32_e32 v60, v61, v60
	v_fmamk_f32 v61, v121, 0xbf2c7751, v65
	s_delay_alu instid0(VALU_DEP_1) | instskip(SKIP_2) | instid1(VALU_DEP_2)
	v_dual_fmac_f32 v65, 0x3f2c7751, v121 :: v_dual_add_f32 v60, v61, v60
	v_fmamk_f32 v61, v123, 0x3f4c4adb, v66
	v_fmac_f32_e32 v66, 0xbf4c4adb, v123
	v_dual_add_f32 v60, v61, v60 :: v_dual_fmamk_f32 v61, v114, 0xbf7ba420, v67
	s_delay_alu instid0(VALU_DEP_1) | instskip(NEXT) | instid1(VALU_DEP_1)
	v_dual_fmac_f32 v62, 0xbe3c28d5, v115 :: v_dual_add_f32 v61, v93, v61
	v_dual_add_f32 v62, v94, v62 :: v_dual_add_f32 v61, v136, v61
	v_mul_f32_e32 v136, 0x3ee437d1, v133
	s_delay_alu instid0(VALU_DEP_2) | instskip(SKIP_4) | instid1(VALU_DEP_4)
	v_add_f32_e32 v62, v63, v62
	v_fma_f32 v63, 0xbf7ba420, v114, -v67
	v_fma_f32 v67, 0xbf1a4643, v114, -v191
	v_fmac_f32_e32 v64, 0xbf06c442, v117
	v_fmamk_f32 v199, v126, 0xbf65296c, v136
	v_add_f32_e32 v63, v93, v63
	s_delay_alu instid0(VALU_DEP_3) | instskip(NEXT) | instid1(VALU_DEP_3)
	v_dual_add_f32 v67, v93, v67 :: v_dual_add_f32 v62, v64, v62
	v_dual_add_f32 v60, v199, v60 :: v_dual_fmamk_f32 v199, v116, 0xbf59a7d5, v138
	v_fma_f32 v64, 0x3f6eb680, v112, -v134
	v_fmac_f32_e32 v188, 0xbf06c442, v121
	s_delay_alu instid0(VALU_DEP_3) | instskip(SKIP_1) | instid1(VALU_DEP_4)
	v_add_f32_e32 v61, v199, v61
	v_fmamk_f32 v199, v119, 0x3f3d2fb0, v139
	v_add_f32_e32 v63, v64, v63
	v_fma_f32 v64, 0xbf59a7d5, v116, -v138
	s_delay_alu instid0(VALU_DEP_3) | instskip(SKIP_1) | instid1(VALU_DEP_3)
	v_dual_fmac_f32 v190, 0xbf2c7751, v126 :: v_dual_add_f32 v61, v199, v61
	v_mul_f32_e32 v199, 0xbe8c1d8e, v135
	v_dual_mul_f32 v142, 0xbf763a35, v142 :: v_dual_add_f32 v63, v64, v63
	v_fma_f32 v64, 0x3f3d2fb0, v119, -v139
	s_delay_alu instid0(VALU_DEP_3) | instskip(SKIP_1) | instid1(VALU_DEP_3)
	v_fmamk_f32 v202, v129, 0x3f763a35, v199
	v_fmac_f32_e32 v199, 0xbf763a35, v129
	v_add_f32_e32 v63, v64, v63
	v_fma_f32 v64, 0xbf1a4643, v122, -v140
	s_delay_alu instid0(VALU_DEP_4) | instskip(NEXT) | instid1(VALU_DEP_2)
	v_add_f32_e32 v60, v202, v60
	v_dual_fmamk_f32 v202, v122, 0xbf1a4643, v140 :: v_dual_add_f32 v63, v64, v63
	v_fma_f32 v64, 0x3ee437d1, v125, -v141
	s_delay_alu instid0(VALU_DEP_2) | instskip(NEXT) | instid1(VALU_DEP_2)
	v_dual_add_f32 v61, v202, v61 :: v_dual_fmamk_f32 v202, v125, 0x3ee437d1, v141
	v_dual_fmac_f32 v200, 0x3f65296c, v132 :: v_dual_add_f32 v63, v64, v63
	v_fma_f32 v64, 0xbe8c1d8e, v128, -v142
	s_delay_alu instid0(VALU_DEP_3) | instskip(SKIP_1) | instid1(VALU_DEP_3)
	v_add_f32_e32 v61, v202, v61
	v_fma_f32 v134, 0xbe8c1d8e, v112, -v192
	v_add_f32_e32 v64, v64, v63
	s_delay_alu instid0(VALU_DEP_2) | instskip(NEXT) | instid1(VALU_DEP_1)
	v_dual_add_f32 v67, v134, v67 :: v_dual_fmamk_f32 v202, v128, 0xbe8c1d8e, v142
	v_dual_add_f32 v202, v202, v61 :: v_dual_fmamk_f32 v61, v132, 0xbf7ee86f, v203
	v_fmac_f32_e32 v203, 0x3f7ee86f, v132
	s_delay_alu instid0(VALU_DEP_2) | instskip(SKIP_1) | instid1(VALU_DEP_1)
	v_add_f32_e32 v61, v61, v60
	v_fma_f32 v134, 0x3f6eb680, v116, -v194
	v_add_f32_e32 v67, v134, v67
	v_fma_f32 v134, 0xbf59a7d5, v119, -v195
	s_delay_alu instid0(VALU_DEP_1) | instskip(SKIP_3) | instid1(VALU_DEP_3)
	v_dual_fmamk_f32 v60, v131, 0x3dbcf732, v143 :: v_dual_add_f32 v67, v134, v67
	v_fma_f32 v134, 0x3dbcf732, v122, -v196
	v_add_f32_e32 v62, v65, v62
	v_fma_f32 v65, 0x3dbcf732, v131, -v143
	v_dual_add_f32 v60, v60, v202 :: v_dual_add_f32 v67, v134, v67
	s_delay_alu instid0(VALU_DEP_3) | instskip(SKIP_2) | instid1(VALU_DEP_2)
	v_add_f32_e32 v62, v66, v62
	v_fma_f32 v134, 0x3f3d2fb0, v125, -v197
	v_fmac_f32_e32 v136, 0x3f65296c, v126
	v_dual_fmamk_f32 v66, v124, 0x3dbcf732, v171 :: v_dual_add_f32 v67, v134, v67
	s_delay_alu instid0(VALU_DEP_2) | instskip(SKIP_2) | instid1(VALU_DEP_3)
	v_add_f32_e32 v62, v136, v62
	v_fma_f32 v134, 0xbf7ba420, v128, -v198
	v_fma_f32 v136, 0x3ee437d1, v131, -v201
	v_add_f32_e32 v62, v199, v62
	s_delay_alu instid0(VALU_DEP_1) | instskip(SKIP_2) | instid1(VALU_DEP_1)
	v_dual_add_f32 v134, v134, v67 :: v_dual_add_f32 v63, v203, v62
	v_add_f32_e32 v62, v65, v64
	v_fmamk_f32 v64, v118, 0xbf59a7d5, v169
	v_dual_fmamk_f32 v65, v120, 0x3ee437d1, v170 :: v_dual_add_f32 v64, v94, v64
	s_delay_alu instid0(VALU_DEP_1) | instskip(NEXT) | instid1(VALU_DEP_1)
	v_add_f32_e32 v64, v65, v64
	v_dual_add_f32 v65, v93, v173 :: v_dual_add_f32 v64, v66, v64
	s_delay_alu instid0(VALU_DEP_1) | instskip(NEXT) | instid1(VALU_DEP_1)
	v_dual_add_f32 v65, v174, v65 :: v_dual_fmamk_f32 v66, v127, 0xbf1a4643, v172
	v_dual_add_f32 v65, v176, v65 :: v_dual_add_f32 v64, v66, v64
	v_fmamk_f32 v66, v130, 0x3f6eb680, v175
	s_delay_alu instid0(VALU_DEP_2) | instskip(NEXT) | instid1(VALU_DEP_2)
	v_add_f32_e32 v65, v178, v65
	v_add_f32_e32 v64, v66, v64
	s_delay_alu instid0(VALU_DEP_2) | instskip(NEXT) | instid1(VALU_DEP_1)
	v_dual_fmamk_f32 v66, v133, 0xbf7ba420, v177 :: v_dual_add_f32 v65, v180, v65
	v_add_f32_e32 v64, v66, v64
	s_delay_alu instid0(VALU_DEP_2) | instskip(NEXT) | instid1(VALU_DEP_1)
	v_dual_fmamk_f32 v66, v135, 0x3f3d2fb0, v179 :: v_dual_add_f32 v65, v181, v65
	v_add_f32_e32 v64, v66, v64
	s_delay_alu instid0(VALU_DEP_2) | instskip(NEXT) | instid1(VALU_DEP_1)
	v_dual_add_f32 v66, v182, v65 :: v_dual_fmamk_f32 v65, v137, 0xbe8c1d8e, v184
	v_dual_add_f32 v65, v65, v64 :: v_dual_add_f32 v64, v183, v66
	v_add_f32_e32 v66, v94, v185
	s_delay_alu instid0(VALU_DEP_1) | instskip(NEXT) | instid1(VALU_DEP_1)
	v_add_f32_e32 v66, v186, v66
	v_add_f32_e32 v66, v187, v66
	s_delay_alu instid0(VALU_DEP_1) | instskip(NEXT) | instid1(VALU_DEP_1)
	v_add_f32_e32 v66, v188, v66
	;; [unrolled: 3-line block ×3, first 2 shown]
	v_add_f32_e32 v66, v193, v66
	s_delay_alu instid0(VALU_DEP_1)
	v_add_f32_e32 v67, v200, v66
	ds_store_2addr_b64 v68, v[60:61], v[62:63] offset0:8 offset1:9
	v_fmamk_f32 v60, v118, 0xbe8c1d8e, v69
	v_dual_fmamk_f32 v61, v120, 0xbf59a7d5, v70 :: v_dual_add_f32 v62, v93, v72
	v_add_f32_e32 v70, v93, v59
	v_fma_f32 v59, 0xbf7ba420, v112, -v157
	s_delay_alu instid0(VALU_DEP_4)
	v_add_f32_e32 v60, v94, v60
	v_add_f32_e32 v69, v94, v58
	;; [unrolled: 1-line block ×5, first 2 shown]
	v_dual_add_f32 v60, v61, v60 :: v_dual_fmamk_f32 v61, v124, 0x3f3d2fb0, v71
	v_add_f32_e32 v0, v0, v69
	s_delay_alu instid0(VALU_DEP_2) | instskip(NEXT) | instid1(VALU_DEP_2)
	v_dual_add_f32 v60, v61, v60 :: v_dual_fmamk_f32 v61, v127, 0x3ee437d1, v74
	v_dual_add_f32 v0, v1, v0 :: v_dual_add_f32 v1, v44, v2
	v_fma_f32 v2, 0x3dbcf732, v119, -v46
	s_delay_alu instid0(VALU_DEP_3) | instskip(SKIP_1) | instid1(VALU_DEP_3)
	v_dual_add_f32 v60, v61, v60 :: v_dual_add_f32 v61, v75, v62
	v_fmamk_f32 v62, v130, 0xbf7ba420, v144
	v_dual_add_f32 v0, v3, v0 :: v_dual_add_f32 v1, v2, v1
	v_fma_f32 v2, 0xbe8c1d8e, v122, -v52
	s_delay_alu instid0(VALU_DEP_3) | instskip(SKIP_1) | instid1(VALU_DEP_3)
	v_dual_add_f32 v61, v145, v61 :: v_dual_add_f32 v60, v62, v60
	v_fmamk_f32 v62, v133, 0x3dbcf732, v146
	v_dual_add_f32 v0, v45, v0 :: v_dual_add_f32 v1, v2, v1
	s_delay_alu instid0(VALU_DEP_3) | instskip(SKIP_1) | instid1(VALU_DEP_4)
	v_add_f32_e32 v61, v147, v61
	v_fma_f32 v2, 0xbf1a4643, v125, -v54
	v_add_f32_e32 v60, v62, v60
	v_fmamk_f32 v62, v135, 0x3f6eb680, v148
	s_delay_alu instid0(VALU_DEP_4) | instskip(NEXT) | instid1(VALU_DEP_4)
	v_dual_add_f32 v0, v47, v0 :: v_dual_add_f32 v61, v149, v61
	v_add_f32_e32 v1, v2, v1
	v_fma_f32 v2, 0xbf59a7d5, v128, -v56
	s_delay_alu instid0(VALU_DEP_4) | instskip(NEXT) | instid1(VALU_DEP_4)
	v_add_f32_e32 v60, v62, v60
	v_dual_fmamk_f32 v62, v137, 0xbf1a4643, v152 :: v_dual_add_f32 v63, v150, v61
	v_add_f32_e32 v0, v53, v0
	s_delay_alu instid0(VALU_DEP_4) | instskip(SKIP_1) | instid1(VALU_DEP_4)
	v_add_f32_e32 v2, v2, v1
	v_fma_f32 v3, 0xbf7ba420, v131, -v57
	v_add_f32_e32 v61, v62, v60
	v_fma_f32 v62, 0x3dbcf732, v114, -v156
	v_dual_add_f32 v60, v151, v63 :: v_dual_add_f32 v63, v94, v153
	v_add_f32_e32 v1, v55, v0
	v_add_f32_e32 v0, v3, v2
	s_delay_alu instid0(VALU_DEP_4) | instskip(NEXT) | instid1(VALU_DEP_4)
	v_add_f32_e32 v62, v93, v62
	v_add_f32_e32 v58, v154, v63
	v_fma_f32 v63, 0x3f3d2fb0, v131, -v168
	s_delay_alu instid0(VALU_DEP_3) | instskip(SKIP_1) | instid1(VALU_DEP_1)
	v_add_f32_e32 v59, v59, v62
	v_fma_f32 v62, 0xbe8c1d8e, v116, -v159
	v_dual_add_f32 v58, v155, v58 :: v_dual_add_f32 v59, v62, v59
	v_fma_f32 v62, 0x3f6eb680, v119, -v161
	s_delay_alu instid0(VALU_DEP_2) | instskip(NEXT) | instid1(VALU_DEP_2)
	v_add_f32_e32 v58, v158, v58
	v_add_f32_e32 v59, v62, v59
	v_fma_f32 v62, 0x3ee437d1, v122, -v163
	s_delay_alu instid0(VALU_DEP_1) | instskip(SKIP_1) | instid1(VALU_DEP_2)
	v_dual_add_f32 v58, v160, v58 :: v_dual_add_f32 v59, v62, v59
	v_fma_f32 v62, 0xbf59a7d5, v125, -v164
	v_add_f32_e32 v58, v162, v58
	s_delay_alu instid0(VALU_DEP_2) | instskip(SKIP_1) | instid1(VALU_DEP_3)
	v_add_f32_e32 v59, v62, v59
	v_fma_f32 v62, 0xbf1a4643, v128, -v166
	v_add_f32_e32 v58, v165, v58
	s_delay_alu instid0(VALU_DEP_1) | instskip(NEXT) | instid1(VALU_DEP_1)
	v_dual_add_f32 v62, v62, v59 :: v_dual_add_f32 v59, v167, v58
	v_add_f32_e32 v58, v63, v62
	ds_store_2addr_b64 v68, v[64:65], v[66:67] offset0:10 offset1:11
	ds_store_2addr_b64 v68, v[60:61], v[58:59] offset0:12 offset1:13
	;; [unrolled: 1-line block ×3, first 2 shown]
	ds_store_b64 v68, v[0:1] offset:128
.LBB0_17:
	s_wait_alu 0xfffe
	s_or_b32 exec_lo, exec_lo, s1
	v_add_nc_u32_e32 v60, 0x800, v99
	global_wb scope:SCOPE_SE
	s_wait_dscnt 0x0
	s_barrier_signal -1
	s_barrier_wait -1
	global_inv scope:SCOPE_SE
	ds_load_2addr_b64 v[56:59], v99 offset1:34
	ds_load_2addr_b64 v[0:3], v99 offset0:204 offset1:255
	ds_load_2addr_b64 v[68:71], v60 offset0:33 offset1:67
	;; [unrolled: 1-line block ×6, first 2 shown]
	s_and_saveexec_b32 s1, s0
	s_cbranch_execz .LBB0_19
; %bb.18:
	v_add_nc_u32_e32 v48, 0x770, v99
	ds_load_2addr_b64 v[48:51], v48 offset1:255
.LBB0_19:
	s_wait_alu 0xfffe
	s_or_b32 exec_lo, exec_lo, s1
	s_wait_dscnt 0x5
	v_dual_mul_f32 v74, v86, v3 :: v_dual_add_nc_u32 v73, 0x220, v100
	v_dual_mul_f32 v75, v86, v2 :: v_dual_add_nc_u32 v72, 0x110, v100
	s_wait_dscnt 0x4
	v_mul_f32_e32 v86, v92, v69
	s_delay_alu instid0(VALU_DEP_3) | instskip(SKIP_2) | instid1(VALU_DEP_4)
	v_fmac_f32_e32 v74, v85, v2
	v_mul_f32_e32 v2, v92, v68
	v_fma_f32 v3, v85, v3, -v75
	v_dual_mul_f32 v75, v90, v70 :: v_dual_fmac_f32 v86, v91, v68
	s_wait_dscnt 0x2
	v_dual_mul_f32 v85, v88, v65 :: v_dual_mul_f32 v68, v90, v71
	global_wb scope:SCOPE_SE
	s_wait_dscnt 0x0
	s_barrier_signal -1
	s_barrier_wait -1
	v_dual_fmac_f32 v85, v87, v64 :: v_dual_fmac_f32 v68, v89, v70
	v_fma_f32 v70, v89, v71, -v75
	v_mul_f32_e32 v71, v82, v67
	v_fma_f32 v69, v91, v69, -v2
	v_mul_f32_e32 v2, v88, v64
	v_mul_f32_e32 v64, v84, v60
	;; [unrolled: 1-line block ×3, first 2 shown]
	v_fmac_f32_e32 v71, v81, v66
	v_sub_f32_e32 v3, v57, v3
	v_fma_f32 v65, v87, v65, -v2
	v_mul_f32_e32 v2, v82, v66
	v_dual_mul_f32 v82, v80, v63 :: v_dual_fmac_f32 v75, v83, v60
	s_delay_alu instid0(VALU_DEP_3) | instskip(NEXT) | instid1(VALU_DEP_3)
	v_dual_sub_f32 v66, v44, v71 :: v_dual_sub_f32 v65, v55, v65
	v_fma_f32 v67, v81, v67, -v2
	v_fma_f32 v81, v83, v61, -v64
	v_dual_mul_f32 v61, v80, v62 :: v_dual_sub_f32 v64, v54, v85
	v_sub_f32_e32 v2, v56, v74
	s_delay_alu instid0(VALU_DEP_4) | instskip(NEXT) | instid1(VALU_DEP_3)
	v_dual_sub_f32 v60, v58, v86 :: v_dual_sub_f32 v67, v45, v67
	v_fma_f32 v74, v79, v63, -v61
	v_sub_f32_e32 v63, v53, v70
	v_fmac_f32_e32 v82, v79, v62
	v_dual_sub_f32 v61, v59, v69 :: v_dual_sub_f32 v62, v52, v68
	s_delay_alu instid0(VALU_DEP_4)
	v_sub_f32_e32 v71, v1, v74
	v_fma_f32 v56, v56, 2.0, -v2
	v_fma_f32 v57, v57, 2.0, -v3
	v_dual_sub_f32 v68, v46, v75 :: v_dual_sub_f32 v69, v47, v81
	v_sub_f32_e32 v70, v0, v82
	v_fma_f32 v58, v58, 2.0, -v60
	v_fma_f32 v59, v59, 2.0, -v61
	;; [unrolled: 1-line block ×12, first 2 shown]
	global_inv scope:SCOPE_SE
	ds_store_2addr_b64 v102, v[56:57], v[2:3] offset1:17
	ds_store_2addr_b64 v108, v[58:59], v[60:61] offset1:17
	;; [unrolled: 1-line block ×7, first 2 shown]
	s_and_saveexec_b32 s1, s0
	s_cbranch_execz .LBB0_21
; %bb.20:
	v_mul_f32_e32 v0, v78, v50
	v_lshl_add_u32 v44, v101, 3, v98
	s_delay_alu instid0(VALU_DEP_2) | instskip(SKIP_1) | instid1(VALU_DEP_3)
	v_fma_f32 v0, v77, v51, -v0
	v_mul_f32_e32 v2, v78, v51
	v_add_nc_u32_e32 v44, 0x800, v44
	s_delay_alu instid0(VALU_DEP_3) | instskip(NEXT) | instid1(VALU_DEP_3)
	v_sub_f32_e32 v1, v49, v0
	v_fmac_f32_e32 v2, v77, v50
	s_delay_alu instid0(VALU_DEP_2) | instskip(NEXT) | instid1(VALU_DEP_2)
	v_fma_f32 v3, v49, 2.0, -v1
	v_sub_f32_e32 v0, v48, v2
	s_delay_alu instid0(VALU_DEP_1)
	v_fma_f32 v2, v48, 2.0, -v0
	ds_store_2addr_b64 v44, v[2:3], v[0:1] offset0:220 offset1:237
.LBB0_21:
	s_wait_alu 0xfffe
	s_or_b32 exec_lo, exec_lo, s1
	global_wb scope:SCOPE_SE
	s_wait_dscnt 0x0
	s_barrier_signal -1
	s_barrier_wait -1
	global_inv scope:SCOPE_SE
	ds_load_2addr_b64 v[0:3], v99 offset0:136 offset1:170
	ds_load_2addr_b64 v[44:47], v99 offset0:204 offset1:238
	s_wait_dscnt 0x0
	v_dual_mul_f32 v75, v5, v45 :: v_dual_add_nc_u32 v70, 0x800, v99
	ds_load_2addr_b64 v[48:51], v70 offset0:84 offset1:118
	ds_load_2addr_b64 v[52:55], v99 offset1:34
	ds_load_2addr_b64 v[56:59], v99 offset0:68 offset1:102
	ds_load_b64 v[68:69], v99 offset:3808
	ds_load_2addr_b64 v[60:63], v70 offset0:152 offset1:186
	ds_load_2addr_b64 v[64:67], v70 offset0:16 offset1:50
	v_mul_f32_e32 v71, v5, v3
	v_mul_f32_e32 v74, v5, v2
	v_mul_f32_e32 v5, v5, v44
	v_mul_f32_e32 v77, v17, v47
	v_fmac_f32_e32 v75, v4, v44
	global_wb scope:SCOPE_SE
	s_wait_dscnt 0x0
	v_fma_f32 v3, v4, v3, -v74
	s_barrier_signal -1
	s_barrier_wait -1
	global_inv scope:SCOPE_SE
	v_dual_mul_f32 v74, v7, v49 :: v_dual_fmac_f32 v71, v4, v2
	v_mul_f32_e32 v2, v7, v48
	v_dual_mul_f32 v44, v7, v51 :: v_dual_mul_f32 v17, v17, v46
	s_delay_alu instid0(VALU_DEP_3)
	v_dual_fmac_f32 v74, v6, v48 :: v_dual_mul_f32 v7, v7, v50
	v_fma_f32 v45, v4, v45, -v5
	v_mul_f32_e32 v4, v13, v64
	v_fma_f32 v5, v6, v49, -v2
	v_dual_fmac_f32 v44, v6, v50 :: v_dual_mul_f32 v49, v19, v61
	v_mul_f32_e32 v2, v19, v60
	v_fma_f32 v48, v6, v51, -v7
	v_dual_fmac_f32 v77, v16, v46 :: v_dual_mul_f32 v46, v15, v63
	v_fma_f32 v16, v16, v47, -v17
	v_mul_f32_e32 v19, v13, v65
	v_dual_fmac_f32 v49, v18, v60 :: v_dual_mul_f32 v50, v9, v67
	v_fma_f32 v17, v18, v61, -v2
	v_mul_f32_e32 v2, v15, v62
	v_fma_f32 v47, v12, v65, -v4
	v_dual_mul_f32 v4, v9, v66 :: v_dual_add_f32 v7, v3, v5
	v_dual_mul_f32 v60, v11, v69 :: v_dual_add_f32 v9, v53, v3
	s_delay_alu instid0(VALU_DEP_4) | instskip(SKIP_1) | instid1(VALU_DEP_4)
	v_fma_f32 v51, v14, v63, -v2
	v_fmac_f32_e32 v50, v8, v66
	v_fma_f32 v61, v8, v67, -v4
	v_add_f32_e32 v4, v71, v74
	v_sub_f32_e32 v8, v3, v5
	v_fma_f32 v3, -0.5, v7, v53
	v_mul_f32_e32 v2, v11, v68
	v_dual_fmac_f32 v19, v12, v64 :: v_dual_fmac_f32 v46, v14, v62
	v_dual_add_f32 v6, v52, v71 :: v_dual_sub_f32 v11, v45, v48
	s_delay_alu instid0(VALU_DEP_3)
	v_fma_f32 v62, v10, v69, -v2
	v_add_f32_e32 v5, v9, v5
	v_add_f32_e32 v9, v54, v75
	v_fma_f32 v2, -0.5, v4, v52
	v_add_f32_e32 v4, v6, v74
	v_sub_f32_e32 v12, v75, v44
	v_dual_fmac_f32 v60, v10, v68 :: v_dual_add_f32 v15, v16, v17
	s_delay_alu instid0(VALU_DEP_4) | instskip(SKIP_4) | instid1(VALU_DEP_3)
	v_dual_fmamk_f32 v6, v8, 0xbf5db3d7, v2 :: v_dual_add_f32 v13, v77, v49
	v_fmac_f32_e32 v2, 0x3f5db3d7, v8
	v_add_f32_e32 v8, v75, v44
	v_add_f32_e32 v14, v56, v77
	v_sub_f32_e32 v18, v16, v17
	v_fma_f32 v54, -0.5, v8, v54
	v_dual_add_f32 v8, v9, v44 :: v_dual_add_f32 v9, v55, v45
	v_sub_f32_e32 v10, v71, v74
	v_add_f32_e32 v44, v57, v16
	s_delay_alu instid0(VALU_DEP_3) | instskip(NEXT) | instid1(VALU_DEP_3)
	v_add_f32_e32 v9, v9, v48
	v_fmamk_f32 v7, v10, 0x3f5db3d7, v3
	v_dual_fmac_f32 v3, 0xbf5db3d7, v10 :: v_dual_add_f32 v10, v45, v48
	v_dual_sub_f32 v45, v77, v49 :: v_dual_sub_f32 v48, v47, v51
	s_delay_alu instid0(VALU_DEP_2) | instskip(NEXT) | instid1(VALU_DEP_1)
	v_dual_fmac_f32 v55, -0.5, v10 :: v_dual_fmamk_f32 v10, v11, 0xbf5db3d7, v54
	v_dual_fmac_f32 v54, 0x3f5db3d7, v11 :: v_dual_fmamk_f32 v11, v12, 0x3f5db3d7, v55
	v_fmac_f32_e32 v55, 0xbf5db3d7, v12
	v_fma_f32 v12, -0.5, v13, v56
	v_fma_f32 v13, -0.5, v15, v57
	v_dual_add_f32 v15, v44, v17 :: v_dual_add_f32 v44, v58, v19
	s_delay_alu instid0(VALU_DEP_2)
	v_fmamk_f32 v17, v45, 0x3f5db3d7, v13
	v_fmac_f32_e32 v13, 0xbf5db3d7, v45
	v_add_f32_e32 v45, v47, v51
	v_dual_add_f32 v47, v59, v47 :: v_dual_add_f32 v14, v14, v49
	ds_store_2addr_b64 v99, v[4:5], v[6:7] offset1:34
	ds_store_2addr_b64 v99, v[2:3], v[8:9] offset0:68 offset1:102
	v_add_nc_u32_e32 v3, 0x800, v109
	v_dual_fmac_f32 v59, -0.5, v45 :: v_dual_fmamk_f32 v16, v18, 0xbf5db3d7, v12
	v_fmac_f32_e32 v12, 0x3f5db3d7, v18
	v_dual_add_f32 v18, v19, v46 :: v_dual_add_f32 v49, v1, v61
	v_add_nc_u32_e32 v2, 0x800, v110
	ds_store_2addr_b64 v99, v[10:11], v[54:55] offset0:136 offset1:170
	v_fma_f32 v58, -0.5, v18, v58
	v_add_f32_e32 v18, v44, v46
	v_sub_f32_e32 v46, v19, v46
	v_add_f32_e32 v19, v47, v51
	v_add_f32_e32 v47, v50, v60
	s_delay_alu instid0(VALU_DEP_3)
	v_fmamk_f32 v45, v46, 0x3f5db3d7, v59
	v_fmac_f32_e32 v59, 0xbf5db3d7, v46
	v_add_f32_e32 v46, v61, v62
	v_fmamk_f32 v44, v48, 0xbf5db3d7, v58
	v_fmac_f32_e32 v58, 0x3f5db3d7, v48
	v_add_f32_e32 v48, v0, v50
	v_fma_f32 v0, -0.5, v47, v0
	v_sub_f32_e32 v47, v61, v62
	v_dual_fmac_f32 v1, -0.5, v46 :: v_dual_sub_f32 v50, v50, v60
	s_delay_alu instid0(VALU_DEP_4) | instskip(NEXT) | instid1(VALU_DEP_3)
	v_add_f32_e32 v46, v48, v60
	v_fmamk_f32 v48, v47, 0xbf5db3d7, v0
	v_dual_fmac_f32 v0, 0x3f5db3d7, v47 :: v_dual_add_f32 v47, v49, v62
	s_delay_alu instid0(VALU_DEP_4)
	v_fmamk_f32 v49, v50, 0x3f5db3d7, v1
	v_fmac_f32_e32 v1, 0xbf5db3d7, v50
	ds_store_2addr_b64 v111, v[14:15], v[16:17] offset0:204 offset1:238
	ds_store_b64 v111, v[12:13] offset:2176
	ds_store_2addr_b64 v2, v[18:19], v[44:45] offset0:50 offset1:84
	ds_store_b64 v110, v[58:59] offset:2992
	;; [unrolled: 2-line block ×3, first 2 shown]
	global_wb scope:SCOPE_SE
	s_wait_dscnt 0x0
	s_barrier_signal -1
	s_barrier_wait -1
	global_inv scope:SCOPE_SE
	ds_load_2addr_b64 v[1:4], v99 offset0:68 offset1:102
	ds_load_2addr_b64 v[5:8], v99 offset0:204 offset1:238
	;; [unrolled: 1-line block ×5, first 2 shown]
	ds_load_2addr_b64 v[48:51], v99 offset1:34
	ds_load_2addr_b64 v[52:55], v70 offset0:84 offset1:118
	ds_load_b64 v[17:18], v99 offset:3808
	s_wait_dscnt 0x7
	v_mul_f32_e32 v0, v37, v4
	v_mul_f32_e32 v19, v37, v3
	s_wait_dscnt 0x6
	v_mul_f32_e32 v37, v39, v6
	s_delay_alu instid0(VALU_DEP_3) | instskip(NEXT) | instid1(VALU_DEP_3)
	v_dual_mul_f32 v39, v39, v5 :: v_dual_fmac_f32 v0, v36, v3
	v_fma_f32 v19, v36, v4, -v19
	s_wait_dscnt 0x5
	v_mul_f32_e32 v3, v41, v11
	s_delay_alu instid0(VALU_DEP_3)
	v_fma_f32 v36, v38, v6, -v39
	v_mul_f32_e32 v39, v35, v8
	v_dual_mul_f32 v56, v41, v12 :: v_dual_fmac_f32 v37, v38, v5
	s_wait_dscnt 0x4
	v_mul_f32_e32 v4, v43, v13
	s_wait_dscnt 0x3
	v_mul_f32_e32 v38, v33, v45
	v_mul_f32_e32 v5, v33, v44
	v_fma_f32 v33, v40, v12, -v3
	v_mul_f32_e32 v3, v35, v7
	s_wait_dscnt 0x1
	v_dual_mul_f32 v35, v25, v53 :: v_dual_mul_f32 v6, v43, v14
	v_fmac_f32_e32 v39, v34, v7
	v_fmac_f32_e32 v56, v40, v11
	v_fma_f32 v34, v34, v8, -v3
	s_delay_alu instid0(VALU_DEP_4)
	v_dual_fmac_f32 v35, v24, v52 :: v_dual_fmac_f32 v6, v42, v13
	v_mul_f32_e32 v3, v27, v15
	v_fma_f32 v13, v42, v14, -v4
	v_mul_f32_e32 v4, v25, v52
	v_mul_f32_e32 v25, v27, v16
	v_fmac_f32_e32 v38, v32, v44
	v_fma_f32 v32, v32, v45, -v5
	v_dual_mul_f32 v40, v29, v47 :: v_dual_mul_f32 v5, v31, v9
	v_fma_f32 v24, v24, v53, -v4
	v_mul_f32_e32 v4, v29, v46
	v_mul_f32_e32 v29, v31, v10
	v_fmac_f32_e32 v25, v26, v15
	v_fma_f32 v26, v26, v16, -v3
	v_add_f32_e32 v3, v37, v56
	s_wait_dscnt 0x0
	v_mul_f32_e32 v41, v23, v18
	v_dual_fmac_f32 v29, v30, v9 :: v_dual_fmac_f32 v40, v28, v46
	v_fma_f32 v30, v30, v10, -v5
	v_add_f32_e32 v5, v48, v0
	v_fma_f32 v31, v28, v47, -v4
	v_mul_f32_e32 v28, v21, v55
	v_dual_mul_f32 v4, v21, v54 :: v_dual_fmac_f32 v41, v22, v17
	v_fma_f32 v3, -0.5, v3, v48
	v_dual_sub_f32 v8, v19, v13 :: v_dual_sub_f32 v9, v6, v56
	v_sub_f32_e32 v7, v0, v37
	s_delay_alu instid0(VALU_DEP_4) | instskip(NEXT) | instid1(VALU_DEP_3)
	v_fma_f32 v42, v20, v55, -v4
	v_dual_add_f32 v4, v5, v37 :: v_dual_fmamk_f32 v5, v8, 0xbf737871, v3
	v_dual_add_f32 v11, v0, v6 :: v_dual_mul_f32 v12, v23, v17
	s_delay_alu instid0(VALU_DEP_4) | instskip(SKIP_4) | instid1(VALU_DEP_4)
	v_add_f32_e32 v14, v7, v9
	v_sub_f32_e32 v10, v36, v33
	v_dual_fmac_f32 v28, v20, v54 :: v_dual_fmac_f32 v3, 0x3f737871, v8
	v_add_f32_e32 v4, v4, v56
	v_fma_f32 v7, -0.5, v11, v48
	v_fmac_f32_e32 v5, 0xbf167918, v10
	v_fma_f32 v43, v22, v18, -v12
	v_sub_f32_e32 v12, v56, v6
	v_dual_add_f32 v9, v4, v6 :: v_dual_sub_f32 v4, v37, v0
	s_delay_alu instid0(VALU_DEP_4) | instskip(SKIP_2) | instid1(VALU_DEP_4)
	v_fmac_f32_e32 v5, 0x3e9e377a, v14
	v_fmamk_f32 v11, v10, 0x3f737871, v7
	v_dual_fmac_f32 v3, 0x3f167918, v10 :: v_dual_add_f32 v16, v36, v33
	v_dual_add_f32 v15, v49, v19 :: v_dual_add_f32 v12, v4, v12
	s_delay_alu instid0(VALU_DEP_3) | instskip(NEXT) | instid1(VALU_DEP_2)
	v_dual_fmac_f32 v11, 0xbf167918, v8 :: v_dual_sub_f32 v0, v0, v6
	v_dual_fmac_f32 v7, 0xbf737871, v10 :: v_dual_add_f32 v10, v15, v36
	s_delay_alu instid0(VALU_DEP_4) | instskip(SKIP_1) | instid1(VALU_DEP_4)
	v_fma_f32 v4, -0.5, v16, v49
	v_fmac_f32_e32 v3, 0x3e9e377a, v14
	v_fmac_f32_e32 v11, 0x3e9e377a, v12
	s_delay_alu instid0(VALU_DEP_4) | instskip(SKIP_4) | instid1(VALU_DEP_4)
	v_dual_fmac_f32 v7, 0x3f167918, v8 :: v_dual_sub_f32 v16, v13, v33
	v_add_f32_e32 v10, v10, v33
	v_dual_fmamk_f32 v6, v0, 0x3f737871, v4 :: v_dual_sub_f32 v15, v19, v36
	v_add_f32_e32 v8, v19, v13
	v_dual_sub_f32 v14, v37, v56 :: v_dual_add_f32 v17, v39, v35
	v_dual_fmac_f32 v7, 0x3e9e377a, v12 :: v_dual_add_f32 v10, v10, v13
	s_delay_alu instid0(VALU_DEP_3) | instskip(NEXT) | instid1(VALU_DEP_3)
	v_fma_f32 v8, -0.5, v8, v49
	v_dual_fmac_f32 v6, 0x3f167918, v14 :: v_dual_add_f32 v15, v15, v16
	v_dual_fmac_f32 v4, 0xbf737871, v0 :: v_dual_sub_f32 v13, v33, v13
	v_dual_sub_f32 v16, v36, v19 :: v_dual_add_f32 v21, v38, v25
	v_sub_f32_e32 v20, v32, v26
	s_delay_alu instid0(VALU_DEP_3) | instskip(SKIP_1) | instid1(VALU_DEP_4)
	v_fmac_f32_e32 v4, 0xbf167918, v14
	v_fmac_f32_e32 v6, 0x3e9e377a, v15
	v_add_f32_e32 v16, v16, v13
	v_fma_f32 v13, -0.5, v17, v50
	v_fmamk_f32 v12, v14, 0xbf737871, v8
	v_add_f32_e32 v18, v50, v38
	v_sub_f32_e32 v17, v38, v39
	v_fmac_f32_e32 v4, 0x3e9e377a, v15
	v_fmamk_f32 v15, v20, 0xbf737871, v13
	v_dual_fmac_f32 v12, 0x3f167918, v0 :: v_dual_sub_f32 v19, v25, v35
	v_dual_fmac_f32 v8, 0x3f737871, v14 :: v_dual_fmac_f32 v13, 0x3f737871, v20
	v_add_f32_e32 v14, v18, v39
	v_fma_f32 v50, -0.5, v21, v50
	s_delay_alu instid0(VALU_DEP_4)
	v_add_f32_e32 v22, v17, v19
	v_sub_f32_e32 v18, v34, v24
	v_add_f32_e32 v21, v34, v24
	v_fmac_f32_e32 v8, 0xbf167918, v0
	v_sub_f32_e32 v27, v41, v28
	v_sub_f32_e32 v23, v38, v25
	v_fmac_f32_e32 v13, 0x3f167918, v18
	v_sub_f32_e32 v33, v28, v41
	ds_store_b64 v100, v[9:10]
	v_add_nc_u32_e32 v9, 0x800, v72
	v_fmac_f32_e32 v13, 0x3e9e377a, v22
	v_fmamk_f32 v19, v18, 0x3f737871, v50
	v_add_f32_e32 v0, v14, v35
	v_fmac_f32_e32 v50, 0xbf737871, v18
	v_fmac_f32_e32 v15, 0xbf167918, v18
	;; [unrolled: 1-line block ×4, first 2 shown]
	v_dual_add_f32 v17, v0, v25 :: v_dual_sub_f32 v0, v39, v38
	v_fmac_f32_e32 v50, 0x3f167918, v20
	v_add_f32_e32 v20, v32, v26
	v_dual_sub_f32 v14, v35, v25 :: v_dual_sub_f32 v25, v26, v24
	s_delay_alu instid0(VALU_DEP_1)
	v_add_f32_e32 v0, v0, v14
	v_fma_f32 v14, -0.5, v21, v51
	v_dual_sub_f32 v21, v39, v35 :: v_dual_fmac_f32 v8, 0x3e9e377a, v16
	v_add_f32_e32 v16, v51, v32
	v_fmac_f32_e32 v51, -0.5, v20
	v_fmac_f32_e32 v19, 0x3e9e377a, v0
	v_fmac_f32_e32 v15, 0x3e9e377a, v22
	v_sub_f32_e32 v22, v32, v34
	s_delay_alu instid0(VALU_DEP_4) | instskip(SKIP_1) | instid1(VALU_DEP_1)
	v_fmamk_f32 v20, v21, 0xbf737871, v51
	v_dual_fmac_f32 v51, 0x3f737871, v21 :: v_dual_add_f32 v16, v16, v34
	v_dual_fmac_f32 v51, 0xbf167918, v23 :: v_dual_add_f32 v18, v16, v24
	v_fmamk_f32 v16, v23, 0x3f737871, v14
	v_fmac_f32_e32 v50, 0x3e9e377a, v0
	v_add_f32_e32 v0, v22, v25
	v_fmac_f32_e32 v14, 0xbf737871, v23
	v_sub_f32_e32 v22, v34, v32
	v_dual_sub_f32 v24, v24, v26 :: v_dual_add_f32 v25, v29, v28
	v_add_f32_e32 v32, v40, v41
	v_fmac_f32_e32 v16, 0x3f167918, v21
	v_fmac_f32_e32 v14, 0xbf167918, v21
	s_delay_alu instid0(VALU_DEP_4)
	v_add_f32_e32 v22, v22, v24
	v_add_f32_e32 v24, v1, v40
	v_fma_f32 v21, -0.5, v25, v1
	v_sub_f32_e32 v25, v40, v29
	v_fma_f32 v1, -0.5, v32, v1
	v_sub_f32_e32 v32, v29, v40
	v_fmac_f32_e32 v16, 0x3e9e377a, v0
	s_delay_alu instid0(VALU_DEP_4) | instskip(SKIP_1) | instid1(VALU_DEP_4)
	v_dual_fmac_f32 v14, 0x3e9e377a, v0 :: v_dual_add_f32 v27, v25, v27
	v_add_f32_e32 v18, v18, v26
	v_add_f32_e32 v32, v32, v33
	;; [unrolled: 1-line block ×3, first 2 shown]
	v_sub_f32_e32 v24, v30, v42
	v_sub_f32_e32 v26, v31, v43
	v_add_f32_e32 v33, v31, v43
	v_fmac_f32_e32 v20, 0x3f167918, v23
	v_fmac_f32_e32 v51, 0x3e9e377a, v22
	v_sub_f32_e32 v29, v29, v28
	v_fmamk_f32 v23, v26, 0xbf737871, v21
	v_fmac_f32_e32 v21, 0x3f737871, v26
	s_delay_alu instid0(VALU_DEP_2) | instskip(NEXT) | instid1(VALU_DEP_2)
	v_fmac_f32_e32 v23, 0xbf167918, v24
	v_fmac_f32_e32 v21, 0x3f167918, v24
	s_delay_alu instid0(VALU_DEP_2) | instskip(NEXT) | instid1(VALU_DEP_2)
	v_fmac_f32_e32 v23, 0x3e9e377a, v27
	v_fmac_f32_e32 v21, 0x3e9e377a, v27
	v_fmamk_f32 v27, v24, 0x3f737871, v1
	v_dual_fmac_f32 v1, 0xbf737871, v24 :: v_dual_add_f32 v24, v2, v31
	s_delay_alu instid0(VALU_DEP_2) | instskip(NEXT) | instid1(VALU_DEP_2)
	v_fmac_f32_e32 v27, 0xbf167918, v26
	v_fmac_f32_e32 v1, 0x3f167918, v26
	;; [unrolled: 1-line block ×3, first 2 shown]
	s_delay_alu instid0(VALU_DEP_3) | instskip(NEXT) | instid1(VALU_DEP_3)
	v_dual_add_f32 v26, v24, v30 :: v_dual_fmac_f32 v27, 0x3e9e377a, v32
	v_fmac_f32_e32 v1, 0x3e9e377a, v32
	v_add_f32_e32 v0, v0, v28
	v_sub_f32_e32 v32, v31, v30
	s_delay_alu instid0(VALU_DEP_2) | instskip(SKIP_3) | instid1(VALU_DEP_4)
	v_dual_add_f32 v26, v26, v42 :: v_dual_add_f32 v25, v0, v41
	v_add_f32_e32 v0, v30, v42
	v_sub_f32_e32 v30, v30, v31
	v_sub_f32_e32 v31, v42, v43
	v_add_f32_e32 v26, v26, v43
	s_delay_alu instid0(VALU_DEP_4) | instskip(SKIP_2) | instid1(VALU_DEP_2)
	v_fma_f32 v22, -0.5, v0, v2
	v_sub_f32_e32 v0, v40, v41
	v_dual_fmac_f32 v2, -0.5, v33 :: v_dual_sub_f32 v33, v43, v42
	v_fmamk_f32 v24, v0, 0x3f737871, v22
	v_fmac_f32_e32 v22, 0xbf737871, v0
	s_delay_alu instid0(VALU_DEP_3)
	v_fmamk_f32 v28, v29, 0xbf737871, v2
	v_fmac_f32_e32 v2, 0x3f737871, v29
	v_add_f32_e32 v32, v32, v33
	v_fmac_f32_e32 v24, 0x3f167918, v29
	v_fmac_f32_e32 v22, 0xbf167918, v29
	v_dual_fmac_f32 v28, 0x3f167918, v0 :: v_dual_add_f32 v29, v30, v31
	v_fmac_f32_e32 v2, 0xbf167918, v0
	v_add_nc_u32_e32 v0, 0x800, v100
	v_fmac_f32_e32 v24, 0x3e9e377a, v32
	v_fmac_f32_e32 v22, 0x3e9e377a, v32
	;; [unrolled: 1-line block ×4, first 2 shown]
	ds_store_2addr_b64 v100, v[5:6], v[11:12] offset0:102 offset1:204
	ds_store_2addr_b64 v0, v[7:8], v[3:4] offset0:50 offset1:152
	v_add_nc_u32_e32 v3, 0x800, v73
	ds_store_2addr_b64 v72, v[15:16], v[19:20] offset0:102 offset1:204
	ds_store_2addr_b64 v9, v[50:51], v[13:14] offset0:50 offset1:152
	;; [unrolled: 1-line block ×5, first 2 shown]
	global_wb scope:SCOPE_SE
	s_wait_dscnt 0x0
	s_barrier_signal -1
	s_barrier_wait -1
	global_inv scope:SCOPE_SE
	s_and_b32 exec_lo, exec_lo, vcc_lo
	s_cbranch_execz .LBB0_23
; %bb.22:
	global_load_b64 v[1:2], v96, s[12:13]
	ds_load_b64 v[3:4], v100
	v_mad_co_u64_u32 v[7:8], null, s4, v97, 0
	s_mov_b32 s0, 0x10101010
	s_mov_b32 s1, 0x3f601010
	s_mul_u64 s[2:3], s[4:5], 0xf0
	s_wait_loadcnt_dscnt 0x0
	v_mul_f32_e32 v5, v4, v2
	v_mul_f32_e32 v2, v3, v2
	s_delay_alu instid0(VALU_DEP_2) | instskip(NEXT) | instid1(VALU_DEP_2)
	v_fmac_f32_e32 v5, v3, v1
	v_fma_f32 v3, v1, v4, -v2
	s_delay_alu instid0(VALU_DEP_2) | instskip(NEXT) | instid1(VALU_DEP_2)
	v_cvt_f64_f32_e32 v[1:2], v5
	v_cvt_f64_f32_e32 v[3:4], v3
	v_mad_co_u64_u32 v[5:6], null, s6, v76, 0
	s_wait_alu 0xfffe
	s_delay_alu instid0(VALU_DEP_3) | instskip(NEXT) | instid1(VALU_DEP_3)
	v_mul_f64_e32 v[1:2], s[0:1], v[1:2]
	v_mul_f64_e32 v[3:4], s[0:1], v[3:4]
	s_delay_alu instid0(VALU_DEP_2) | instskip(NEXT) | instid1(VALU_DEP_2)
	v_cvt_f32_f64_e32 v1, v[1:2]
	v_cvt_f32_f64_e32 v2, v[3:4]
	v_dual_mov_b32 v4, v8 :: v_dual_mov_b32 v3, v6
	s_delay_alu instid0(VALU_DEP_1) | instskip(SKIP_1) | instid1(VALU_DEP_2)
	v_mad_co_u64_u32 v[8:9], null, s7, v76, v[3:4]
	v_mad_co_u64_u32 v[3:4], null, s5, v97, v[4:5]
	v_mov_b32_e32 v6, v8
	s_delay_alu instid0(VALU_DEP_2) | instskip(NEXT) | instid1(VALU_DEP_2)
	v_mov_b32_e32 v8, v3
	v_lshlrev_b64_e32 v[3:4], 3, v[5:6]
	s_delay_alu instid0(VALU_DEP_2) | instskip(NEXT) | instid1(VALU_DEP_2)
	v_lshlrev_b64_e32 v[5:6], 3, v[7:8]
	v_add_co_u32 v9, vcc_lo, s14, v3
	s_delay_alu instid0(VALU_DEP_3) | instskip(NEXT) | instid1(VALU_DEP_2)
	v_add_co_ci_u32_e32 v10, vcc_lo, s15, v4, vcc_lo
	v_add_co_u32 v5, vcc_lo, v9, v5
	s_wait_alu 0xfffd
	s_delay_alu instid0(VALU_DEP_2)
	v_add_co_ci_u32_e32 v6, vcc_lo, v10, v6, vcc_lo
	global_store_b64 v[5:6], v[1:2], off
	global_load_b64 v[7:8], v96, s[12:13] offset:240
	ds_load_2addr_b64 v[1:4], v100 offset0:30 offset1:60
	v_add_co_u32 v5, vcc_lo, v5, s2
	s_wait_alu 0xfffd
	v_add_co_ci_u32_e32 v6, vcc_lo, s3, v6, vcc_lo
	s_wait_loadcnt_dscnt 0x0
	v_mul_f32_e32 v11, v2, v8
	v_mul_f32_e32 v8, v1, v8
	s_delay_alu instid0(VALU_DEP_2) | instskip(NEXT) | instid1(VALU_DEP_2)
	v_fmac_f32_e32 v11, v1, v7
	v_fma_f32 v7, v7, v2, -v8
	s_delay_alu instid0(VALU_DEP_2) | instskip(NEXT) | instid1(VALU_DEP_2)
	v_cvt_f64_f32_e32 v[1:2], v11
	v_cvt_f64_f32_e32 v[7:8], v7
	s_delay_alu instid0(VALU_DEP_2) | instskip(NEXT) | instid1(VALU_DEP_2)
	v_mul_f64_e32 v[1:2], s[0:1], v[1:2]
	v_mul_f64_e32 v[7:8], s[0:1], v[7:8]
	s_delay_alu instid0(VALU_DEP_2) | instskip(NEXT) | instid1(VALU_DEP_2)
	v_cvt_f32_f64_e32 v1, v[1:2]
	v_cvt_f32_f64_e32 v2, v[7:8]
	global_store_b64 v[5:6], v[1:2], off
	global_load_b64 v[1:2], v96, s[12:13] offset:480
	v_add_co_u32 v5, vcc_lo, v5, s2
	s_wait_alu 0xfffd
	v_add_co_ci_u32_e32 v6, vcc_lo, s3, v6, vcc_lo
	s_wait_loadcnt 0x0
	v_mul_f32_e32 v7, v4, v2
	v_mul_f32_e32 v2, v3, v2
	s_delay_alu instid0(VALU_DEP_2) | instskip(NEXT) | instid1(VALU_DEP_2)
	v_fmac_f32_e32 v7, v3, v1
	v_fma_f32 v3, v1, v4, -v2
	s_delay_alu instid0(VALU_DEP_2) | instskip(NEXT) | instid1(VALU_DEP_2)
	v_cvt_f64_f32_e32 v[1:2], v7
	v_cvt_f64_f32_e32 v[3:4], v3
	s_delay_alu instid0(VALU_DEP_2) | instskip(NEXT) | instid1(VALU_DEP_2)
	v_mul_f64_e32 v[1:2], s[0:1], v[1:2]
	v_mul_f64_e32 v[3:4], s[0:1], v[3:4]
	s_delay_alu instid0(VALU_DEP_2) | instskip(NEXT) | instid1(VALU_DEP_2)
	v_cvt_f32_f64_e32 v1, v[1:2]
	v_cvt_f32_f64_e32 v2, v[3:4]
	global_store_b64 v[5:6], v[1:2], off
	global_load_b64 v[7:8], v96, s[12:13] offset:720
	ds_load_2addr_b64 v[1:4], v100 offset0:90 offset1:120
	v_add_co_u32 v5, vcc_lo, v5, s2
	s_wait_alu 0xfffd
	v_add_co_ci_u32_e32 v6, vcc_lo, s3, v6, vcc_lo
	s_wait_loadcnt_dscnt 0x0
	v_mul_f32_e32 v11, v2, v8
	v_mul_f32_e32 v8, v1, v8
	s_delay_alu instid0(VALU_DEP_2) | instskip(NEXT) | instid1(VALU_DEP_2)
	v_fmac_f32_e32 v11, v1, v7
	v_fma_f32 v7, v7, v2, -v8
	s_delay_alu instid0(VALU_DEP_2) | instskip(NEXT) | instid1(VALU_DEP_2)
	v_cvt_f64_f32_e32 v[1:2], v11
	v_cvt_f64_f32_e32 v[7:8], v7
	s_delay_alu instid0(VALU_DEP_2) | instskip(NEXT) | instid1(VALU_DEP_2)
	v_mul_f64_e32 v[1:2], s[0:1], v[1:2]
	v_mul_f64_e32 v[7:8], s[0:1], v[7:8]
	s_delay_alu instid0(VALU_DEP_2) | instskip(NEXT) | instid1(VALU_DEP_2)
	v_cvt_f32_f64_e32 v1, v[1:2]
	v_cvt_f32_f64_e32 v2, v[7:8]
	global_store_b64 v[5:6], v[1:2], off
	global_load_b64 v[1:2], v96, s[12:13] offset:960
	v_add_co_u32 v5, vcc_lo, v5, s2
	s_wait_alu 0xfffd
	v_add_co_ci_u32_e32 v6, vcc_lo, s3, v6, vcc_lo
	s_wait_loadcnt 0x0
	v_mul_f32_e32 v7, v4, v2
	v_mul_f32_e32 v2, v3, v2
	s_delay_alu instid0(VALU_DEP_2) | instskip(NEXT) | instid1(VALU_DEP_2)
	v_fmac_f32_e32 v7, v3, v1
	v_fma_f32 v3, v1, v4, -v2
	s_delay_alu instid0(VALU_DEP_2) | instskip(NEXT) | instid1(VALU_DEP_2)
	v_cvt_f64_f32_e32 v[1:2], v7
	v_cvt_f64_f32_e32 v[3:4], v3
	s_delay_alu instid0(VALU_DEP_2) | instskip(NEXT) | instid1(VALU_DEP_2)
	v_mul_f64_e32 v[1:2], s[0:1], v[1:2]
	v_mul_f64_e32 v[3:4], s[0:1], v[3:4]
	s_delay_alu instid0(VALU_DEP_2) | instskip(NEXT) | instid1(VALU_DEP_2)
	v_cvt_f32_f64_e32 v1, v[1:2]
	v_cvt_f32_f64_e32 v2, v[3:4]
	;; [unrolled: 41-line block ×6, first 2 shown]
	global_store_b64 v[5:6], v[1:2], off
	global_load_b64 v[7:8], v96, s[12:13] offset:3120
	ds_load_2addr_b64 v[1:4], v0 offset0:134 offset1:164
	v_add_co_u32 v5, vcc_lo, v5, s2
	s_wait_alu 0xfffd
	v_add_co_ci_u32_e32 v6, vcc_lo, s3, v6, vcc_lo
	s_wait_loadcnt_dscnt 0x0
	v_mul_f32_e32 v11, v2, v8
	v_mul_f32_e32 v8, v1, v8
	s_delay_alu instid0(VALU_DEP_2) | instskip(NEXT) | instid1(VALU_DEP_2)
	v_fmac_f32_e32 v11, v1, v7
	v_fma_f32 v7, v7, v2, -v8
	s_delay_alu instid0(VALU_DEP_2) | instskip(NEXT) | instid1(VALU_DEP_2)
	v_cvt_f64_f32_e32 v[1:2], v11
	v_cvt_f64_f32_e32 v[7:8], v7
	s_delay_alu instid0(VALU_DEP_2) | instskip(NEXT) | instid1(VALU_DEP_2)
	v_mul_f64_e32 v[1:2], s[0:1], v[1:2]
	v_mul_f64_e32 v[7:8], s[0:1], v[7:8]
	s_delay_alu instid0(VALU_DEP_2) | instskip(NEXT) | instid1(VALU_DEP_2)
	v_cvt_f32_f64_e32 v1, v[1:2]
	v_cvt_f32_f64_e32 v2, v[7:8]
	global_store_b64 v[5:6], v[1:2], off
	global_load_b64 v[1:2], v96, s[12:13] offset:3360
	s_wait_loadcnt 0x0
	v_mul_f32_e32 v7, v4, v2
	v_mul_f32_e32 v2, v3, v2
	s_delay_alu instid0(VALU_DEP_2) | instskip(NEXT) | instid1(VALU_DEP_2)
	v_fmac_f32_e32 v7, v3, v1
	v_fma_f32 v3, v1, v4, -v2
	s_delay_alu instid0(VALU_DEP_2) | instskip(NEXT) | instid1(VALU_DEP_2)
	v_cvt_f64_f32_e32 v[1:2], v7
	v_cvt_f64_f32_e32 v[3:4], v3
	s_delay_alu instid0(VALU_DEP_2) | instskip(NEXT) | instid1(VALU_DEP_2)
	v_mul_f64_e32 v[1:2], s[0:1], v[1:2]
	v_mul_f64_e32 v[3:4], s[0:1], v[3:4]
	s_delay_alu instid0(VALU_DEP_2) | instskip(NEXT) | instid1(VALU_DEP_2)
	v_cvt_f32_f64_e32 v1, v[1:2]
	v_cvt_f32_f64_e32 v2, v[3:4]
	v_add_co_u32 v4, vcc_lo, v5, s2
	s_wait_alu 0xfffd
	v_add_co_ci_u32_e32 v5, vcc_lo, s3, v6, vcc_lo
	global_store_b64 v[4:5], v[1:2], off
	global_load_b64 v[6:7], v96, s[12:13] offset:3600
	ds_load_2addr_b64 v[0:3], v0 offset0:194 offset1:224
	v_add_co_u32 v4, vcc_lo, v4, s2
	s_wait_alu 0xfffd
	v_add_co_ci_u32_e32 v5, vcc_lo, s3, v5, vcc_lo
	s_wait_loadcnt_dscnt 0x0
	v_mul_f32_e32 v8, v1, v7
	v_mul_f32_e32 v7, v0, v7
	s_delay_alu instid0(VALU_DEP_2) | instskip(NEXT) | instid1(VALU_DEP_2)
	v_fmac_f32_e32 v8, v0, v6
	v_fma_f32 v6, v6, v1, -v7
	s_delay_alu instid0(VALU_DEP_2) | instskip(NEXT) | instid1(VALU_DEP_2)
	v_cvt_f64_f32_e32 v[0:1], v8
	v_cvt_f64_f32_e32 v[6:7], v6
	s_delay_alu instid0(VALU_DEP_2) | instskip(NEXT) | instid1(VALU_DEP_2)
	v_mul_f64_e32 v[0:1], s[0:1], v[0:1]
	v_mul_f64_e32 v[6:7], s[0:1], v[6:7]
	s_delay_alu instid0(VALU_DEP_2) | instskip(NEXT) | instid1(VALU_DEP_2)
	v_cvt_f32_f64_e32 v0, v[0:1]
	v_cvt_f32_f64_e32 v1, v[6:7]
	global_store_b64 v[4:5], v[0:1], off
	global_load_b64 v[0:1], v96, s[12:13] offset:3840
	s_wait_loadcnt 0x0
	v_mul_f32_e32 v4, v3, v1
	v_mul_f32_e32 v1, v2, v1
	s_delay_alu instid0(VALU_DEP_2) | instskip(NEXT) | instid1(VALU_DEP_2)
	v_fmac_f32_e32 v4, v2, v0
	v_fma_f32 v2, v0, v3, -v1
	s_delay_alu instid0(VALU_DEP_2) | instskip(NEXT) | instid1(VALU_DEP_2)
	v_cvt_f64_f32_e32 v[0:1], v4
	v_cvt_f64_f32_e32 v[2:3], v2
	v_mad_co_u64_u32 v[4:5], null, s4, v95, 0
	s_delay_alu instid0(VALU_DEP_3) | instskip(NEXT) | instid1(VALU_DEP_3)
	v_mul_f64_e32 v[0:1], s[0:1], v[0:1]
	v_mul_f64_e32 v[2:3], s[0:1], v[2:3]
	s_delay_alu instid0(VALU_DEP_2) | instskip(NEXT) | instid1(VALU_DEP_2)
	v_cvt_f32_f64_e32 v0, v[0:1]
	v_cvt_f32_f64_e32 v1, v[2:3]
	v_mov_b32_e32 v2, v5
	s_delay_alu instid0(VALU_DEP_1) | instskip(NEXT) | instid1(VALU_DEP_1)
	v_mad_co_u64_u32 v[2:3], null, s5, v95, v[2:3]
	v_mov_b32_e32 v5, v2
	s_delay_alu instid0(VALU_DEP_1) | instskip(NEXT) | instid1(VALU_DEP_1)
	v_lshlrev_b64_e32 v[2:3], 3, v[4:5]
	v_add_co_u32 v2, vcc_lo, v9, v2
	s_wait_alu 0xfffd
	s_delay_alu instid0(VALU_DEP_2)
	v_add_co_ci_u32_e32 v3, vcc_lo, v10, v3, vcc_lo
	global_store_b64 v[2:3], v[0:1], off
.LBB0_23:
	s_nop 0
	s_sendmsg sendmsg(MSG_DEALLOC_VGPRS)
	s_endpgm
	.section	.rodata,"a",@progbits
	.p2align	6, 0x0
	.amdhsa_kernel bluestein_single_fwd_len510_dim1_sp_op_CI_CI
		.amdhsa_group_segment_fixed_size 28560
		.amdhsa_private_segment_fixed_size 0
		.amdhsa_kernarg_size 104
		.amdhsa_user_sgpr_count 2
		.amdhsa_user_sgpr_dispatch_ptr 0
		.amdhsa_user_sgpr_queue_ptr 0
		.amdhsa_user_sgpr_kernarg_segment_ptr 1
		.amdhsa_user_sgpr_dispatch_id 0
		.amdhsa_user_sgpr_private_segment_size 0
		.amdhsa_wavefront_size32 1
		.amdhsa_uses_dynamic_stack 0
		.amdhsa_enable_private_segment 0
		.amdhsa_system_sgpr_workgroup_id_x 1
		.amdhsa_system_sgpr_workgroup_id_y 0
		.amdhsa_system_sgpr_workgroup_id_z 0
		.amdhsa_system_sgpr_workgroup_info 0
		.amdhsa_system_vgpr_workitem_id 0
		.amdhsa_next_free_vgpr 204
		.amdhsa_next_free_sgpr 16
		.amdhsa_reserve_vcc 1
		.amdhsa_float_round_mode_32 0
		.amdhsa_float_round_mode_16_64 0
		.amdhsa_float_denorm_mode_32 3
		.amdhsa_float_denorm_mode_16_64 3
		.amdhsa_fp16_overflow 0
		.amdhsa_workgroup_processor_mode 1
		.amdhsa_memory_ordered 1
		.amdhsa_forward_progress 0
		.amdhsa_round_robin_scheduling 0
		.amdhsa_exception_fp_ieee_invalid_op 0
		.amdhsa_exception_fp_denorm_src 0
		.amdhsa_exception_fp_ieee_div_zero 0
		.amdhsa_exception_fp_ieee_overflow 0
		.amdhsa_exception_fp_ieee_underflow 0
		.amdhsa_exception_fp_ieee_inexact 0
		.amdhsa_exception_int_div_zero 0
	.end_amdhsa_kernel
	.text
.Lfunc_end0:
	.size	bluestein_single_fwd_len510_dim1_sp_op_CI_CI, .Lfunc_end0-bluestein_single_fwd_len510_dim1_sp_op_CI_CI
                                        ; -- End function
	.section	.AMDGPU.csdata,"",@progbits
; Kernel info:
; codeLenInByte = 22880
; NumSgprs: 18
; NumVgprs: 204
; ScratchSize: 0
; MemoryBound: 0
; FloatMode: 240
; IeeeMode: 1
; LDSByteSize: 28560 bytes/workgroup (compile time only)
; SGPRBlocks: 2
; VGPRBlocks: 25
; NumSGPRsForWavesPerEU: 18
; NumVGPRsForWavesPerEU: 204
; Occupancy: 7
; WaveLimiterHint : 1
; COMPUTE_PGM_RSRC2:SCRATCH_EN: 0
; COMPUTE_PGM_RSRC2:USER_SGPR: 2
; COMPUTE_PGM_RSRC2:TRAP_HANDLER: 0
; COMPUTE_PGM_RSRC2:TGID_X_EN: 1
; COMPUTE_PGM_RSRC2:TGID_Y_EN: 0
; COMPUTE_PGM_RSRC2:TGID_Z_EN: 0
; COMPUTE_PGM_RSRC2:TIDIG_COMP_CNT: 0
	.text
	.p2alignl 7, 3214868480
	.fill 96, 4, 3214868480
	.type	__hip_cuid_ec05e8ffde6c3fdd,@object ; @__hip_cuid_ec05e8ffde6c3fdd
	.section	.bss,"aw",@nobits
	.globl	__hip_cuid_ec05e8ffde6c3fdd
__hip_cuid_ec05e8ffde6c3fdd:
	.byte	0                               ; 0x0
	.size	__hip_cuid_ec05e8ffde6c3fdd, 1

	.ident	"AMD clang version 19.0.0git (https://github.com/RadeonOpenCompute/llvm-project roc-6.4.0 25133 c7fe45cf4b819c5991fe208aaa96edf142730f1d)"
	.section	".note.GNU-stack","",@progbits
	.addrsig
	.addrsig_sym __hip_cuid_ec05e8ffde6c3fdd
	.amdgpu_metadata
---
amdhsa.kernels:
  - .args:
      - .actual_access:  read_only
        .address_space:  global
        .offset:         0
        .size:           8
        .value_kind:     global_buffer
      - .actual_access:  read_only
        .address_space:  global
        .offset:         8
        .size:           8
        .value_kind:     global_buffer
      - .actual_access:  read_only
        .address_space:  global
        .offset:         16
        .size:           8
        .value_kind:     global_buffer
      - .actual_access:  read_only
        .address_space:  global
        .offset:         24
        .size:           8
        .value_kind:     global_buffer
      - .actual_access:  read_only
        .address_space:  global
        .offset:         32
        .size:           8
        .value_kind:     global_buffer
      - .offset:         40
        .size:           8
        .value_kind:     by_value
      - .address_space:  global
        .offset:         48
        .size:           8
        .value_kind:     global_buffer
      - .address_space:  global
        .offset:         56
        .size:           8
        .value_kind:     global_buffer
      - .address_space:  global
        .offset:         64
        .size:           8
        .value_kind:     global_buffer
      - .address_space:  global
        .offset:         72
        .size:           8
        .value_kind:     global_buffer
      - .offset:         80
        .size:           4
        .value_kind:     by_value
      - .address_space:  global
        .offset:         88
        .size:           8
        .value_kind:     global_buffer
      - .address_space:  global
        .offset:         96
        .size:           8
        .value_kind:     global_buffer
    .group_segment_fixed_size: 28560
    .kernarg_segment_align: 8
    .kernarg_segment_size: 104
    .language:       OpenCL C
    .language_version:
      - 2
      - 0
    .max_flat_workgroup_size: 238
    .name:           bluestein_single_fwd_len510_dim1_sp_op_CI_CI
    .private_segment_fixed_size: 0
    .sgpr_count:     18
    .sgpr_spill_count: 0
    .symbol:         bluestein_single_fwd_len510_dim1_sp_op_CI_CI.kd
    .uniform_work_group_size: 1
    .uses_dynamic_stack: false
    .vgpr_count:     204
    .vgpr_spill_count: 0
    .wavefront_size: 32
    .workgroup_processor_mode: 1
amdhsa.target:   amdgcn-amd-amdhsa--gfx1201
amdhsa.version:
  - 1
  - 2
...

	.end_amdgpu_metadata
